;; amdgpu-corpus repo=ROCm/rocFFT kind=compiled arch=gfx906 opt=O3
	.text
	.amdgcn_target "amdgcn-amd-amdhsa--gfx906"
	.amdhsa_code_object_version 6
	.protected	fft_rtc_back_len1071_factors_17_7_9_wgs_119_tpt_119_halfLds_sp_ip_CI_sbrr_dirReg ; -- Begin function fft_rtc_back_len1071_factors_17_7_9_wgs_119_tpt_119_halfLds_sp_ip_CI_sbrr_dirReg
	.globl	fft_rtc_back_len1071_factors_17_7_9_wgs_119_tpt_119_halfLds_sp_ip_CI_sbrr_dirReg
	.p2align	8
	.type	fft_rtc_back_len1071_factors_17_7_9_wgs_119_tpt_119_halfLds_sp_ip_CI_sbrr_dirReg,@function
fft_rtc_back_len1071_factors_17_7_9_wgs_119_tpt_119_halfLds_sp_ip_CI_sbrr_dirReg: ; @fft_rtc_back_len1071_factors_17_7_9_wgs_119_tpt_119_halfLds_sp_ip_CI_sbrr_dirReg
; %bb.0:
	s_load_dwordx2 s[2:3], s[4:5], 0x18
	s_load_dwordx4 s[8:11], s[4:5], 0x0
	s_load_dwordx2 s[14:15], s[4:5], 0x50
	v_mul_u32_u24_e32 v1, 0x227, v0
	v_add_u32_sdwa v5, s6, v1 dst_sel:DWORD dst_unused:UNUSED_PAD src0_sel:DWORD src1_sel:WORD_1
	s_waitcnt lgkmcnt(0)
	s_load_dwordx2 s[12:13], s[2:3], 0x0
	v_cmp_lt_u64_e64 s[0:1], s[10:11], 2
	v_mov_b32_e32 v3, 0
	v_mov_b32_e32 v1, 0
	;; [unrolled: 1-line block ×3, first 2 shown]
	s_and_b64 vcc, exec, s[0:1]
	v_mov_b32_e32 v2, 0
	s_cbranch_vccnz .LBB0_8
; %bb.1:
	s_load_dwordx2 s[0:1], s[4:5], 0x10
	s_add_u32 s6, s2, 8
	s_addc_u32 s7, s3, 0
	v_mov_b32_e32 v1, 0
	v_mov_b32_e32 v2, 0
	s_waitcnt lgkmcnt(0)
	s_add_u32 s16, s0, 8
	s_addc_u32 s17, s1, 0
	s_mov_b64 s[18:19], 1
.LBB0_2:                                ; =>This Inner Loop Header: Depth=1
	s_load_dwordx2 s[20:21], s[16:17], 0x0
                                        ; implicit-def: $vgpr7_vgpr8
	s_waitcnt lgkmcnt(0)
	v_or_b32_e32 v4, s21, v6
	v_cmp_ne_u64_e32 vcc, 0, v[3:4]
	s_and_saveexec_b64 s[0:1], vcc
	s_xor_b64 s[22:23], exec, s[0:1]
	s_cbranch_execz .LBB0_4
; %bb.3:                                ;   in Loop: Header=BB0_2 Depth=1
	v_cvt_f32_u32_e32 v4, s20
	v_cvt_f32_u32_e32 v7, s21
	s_sub_u32 s0, 0, s20
	s_subb_u32 s1, 0, s21
	v_mac_f32_e32 v4, 0x4f800000, v7
	v_rcp_f32_e32 v4, v4
	v_mul_f32_e32 v4, 0x5f7ffffc, v4
	v_mul_f32_e32 v7, 0x2f800000, v4
	v_trunc_f32_e32 v7, v7
	v_mac_f32_e32 v4, 0xcf800000, v7
	v_cvt_u32_f32_e32 v7, v7
	v_cvt_u32_f32_e32 v4, v4
	v_mul_lo_u32 v8, s0, v7
	v_mul_hi_u32 v9, s0, v4
	v_mul_lo_u32 v11, s1, v4
	v_mul_lo_u32 v10, s0, v4
	v_add_u32_e32 v8, v9, v8
	v_add_u32_e32 v8, v8, v11
	v_mul_hi_u32 v9, v4, v10
	v_mul_lo_u32 v11, v4, v8
	v_mul_hi_u32 v13, v4, v8
	v_mul_hi_u32 v12, v7, v10
	v_mul_lo_u32 v10, v7, v10
	v_mul_hi_u32 v14, v7, v8
	v_add_co_u32_e32 v9, vcc, v9, v11
	v_addc_co_u32_e32 v11, vcc, 0, v13, vcc
	v_mul_lo_u32 v8, v7, v8
	v_add_co_u32_e32 v9, vcc, v9, v10
	v_addc_co_u32_e32 v9, vcc, v11, v12, vcc
	v_addc_co_u32_e32 v10, vcc, 0, v14, vcc
	v_add_co_u32_e32 v8, vcc, v9, v8
	v_addc_co_u32_e32 v9, vcc, 0, v10, vcc
	v_add_co_u32_e32 v4, vcc, v4, v8
	v_addc_co_u32_e32 v7, vcc, v7, v9, vcc
	v_mul_lo_u32 v8, s0, v7
	v_mul_hi_u32 v9, s0, v4
	v_mul_lo_u32 v10, s1, v4
	v_mul_lo_u32 v11, s0, v4
	v_add_u32_e32 v8, v9, v8
	v_add_u32_e32 v8, v8, v10
	v_mul_lo_u32 v12, v4, v8
	v_mul_hi_u32 v13, v4, v11
	v_mul_hi_u32 v14, v4, v8
	;; [unrolled: 1-line block ×3, first 2 shown]
	v_mul_lo_u32 v11, v7, v11
	v_mul_hi_u32 v9, v7, v8
	v_add_co_u32_e32 v12, vcc, v13, v12
	v_addc_co_u32_e32 v13, vcc, 0, v14, vcc
	v_mul_lo_u32 v8, v7, v8
	v_add_co_u32_e32 v11, vcc, v12, v11
	v_addc_co_u32_e32 v10, vcc, v13, v10, vcc
	v_addc_co_u32_e32 v9, vcc, 0, v9, vcc
	v_add_co_u32_e32 v8, vcc, v10, v8
	v_addc_co_u32_e32 v9, vcc, 0, v9, vcc
	v_add_co_u32_e32 v4, vcc, v4, v8
	v_addc_co_u32_e32 v9, vcc, v7, v9, vcc
	v_mad_u64_u32 v[7:8], s[0:1], v5, v9, 0
	v_mul_hi_u32 v10, v5, v4
	v_add_co_u32_e32 v11, vcc, v10, v7
	v_addc_co_u32_e32 v12, vcc, 0, v8, vcc
	v_mad_u64_u32 v[7:8], s[0:1], v6, v4, 0
	v_mad_u64_u32 v[9:10], s[0:1], v6, v9, 0
	v_add_co_u32_e32 v4, vcc, v11, v7
	v_addc_co_u32_e32 v4, vcc, v12, v8, vcc
	v_addc_co_u32_e32 v7, vcc, 0, v10, vcc
	v_add_co_u32_e32 v4, vcc, v4, v9
	v_addc_co_u32_e32 v9, vcc, 0, v7, vcc
	v_mul_lo_u32 v10, s21, v4
	v_mul_lo_u32 v11, s20, v9
	v_mad_u64_u32 v[7:8], s[0:1], s20, v4, 0
	v_add3_u32 v8, v8, v11, v10
	v_sub_u32_e32 v10, v6, v8
	v_mov_b32_e32 v11, s21
	v_sub_co_u32_e32 v7, vcc, v5, v7
	v_subb_co_u32_e64 v10, s[0:1], v10, v11, vcc
	v_subrev_co_u32_e64 v11, s[0:1], s20, v7
	v_subbrev_co_u32_e64 v10, s[0:1], 0, v10, s[0:1]
	v_cmp_le_u32_e64 s[0:1], s21, v10
	v_cndmask_b32_e64 v12, 0, -1, s[0:1]
	v_cmp_le_u32_e64 s[0:1], s20, v11
	v_cndmask_b32_e64 v11, 0, -1, s[0:1]
	v_cmp_eq_u32_e64 s[0:1], s21, v10
	v_cndmask_b32_e64 v10, v12, v11, s[0:1]
	v_add_co_u32_e64 v11, s[0:1], 2, v4
	v_addc_co_u32_e64 v12, s[0:1], 0, v9, s[0:1]
	v_add_co_u32_e64 v13, s[0:1], 1, v4
	v_addc_co_u32_e64 v14, s[0:1], 0, v9, s[0:1]
	v_subb_co_u32_e32 v8, vcc, v6, v8, vcc
	v_cmp_ne_u32_e64 s[0:1], 0, v10
	v_cmp_le_u32_e32 vcc, s21, v8
	v_cndmask_b32_e64 v10, v14, v12, s[0:1]
	v_cndmask_b32_e64 v12, 0, -1, vcc
	v_cmp_le_u32_e32 vcc, s20, v7
	v_cndmask_b32_e64 v7, 0, -1, vcc
	v_cmp_eq_u32_e32 vcc, s21, v8
	v_cndmask_b32_e32 v7, v12, v7, vcc
	v_cmp_ne_u32_e32 vcc, 0, v7
	v_cndmask_b32_e64 v7, v13, v11, s[0:1]
	v_cndmask_b32_e32 v8, v9, v10, vcc
	v_cndmask_b32_e32 v7, v4, v7, vcc
.LBB0_4:                                ;   in Loop: Header=BB0_2 Depth=1
	s_andn2_saveexec_b64 s[0:1], s[22:23]
	s_cbranch_execz .LBB0_6
; %bb.5:                                ;   in Loop: Header=BB0_2 Depth=1
	v_cvt_f32_u32_e32 v4, s20
	s_sub_i32 s22, 0, s20
	v_rcp_iflag_f32_e32 v4, v4
	v_mul_f32_e32 v4, 0x4f7ffffe, v4
	v_cvt_u32_f32_e32 v4, v4
	v_mul_lo_u32 v7, s22, v4
	v_mul_hi_u32 v7, v4, v7
	v_add_u32_e32 v4, v4, v7
	v_mul_hi_u32 v4, v5, v4
	v_mul_lo_u32 v7, v4, s20
	v_add_u32_e32 v8, 1, v4
	v_sub_u32_e32 v7, v5, v7
	v_subrev_u32_e32 v9, s20, v7
	v_cmp_le_u32_e32 vcc, s20, v7
	v_cndmask_b32_e32 v7, v7, v9, vcc
	v_cndmask_b32_e32 v4, v4, v8, vcc
	v_add_u32_e32 v8, 1, v4
	v_cmp_le_u32_e32 vcc, s20, v7
	v_cndmask_b32_e32 v7, v4, v8, vcc
	v_mov_b32_e32 v8, v3
.LBB0_6:                                ;   in Loop: Header=BB0_2 Depth=1
	s_or_b64 exec, exec, s[0:1]
	v_mul_lo_u32 v4, v8, s20
	v_mul_lo_u32 v11, v7, s21
	v_mad_u64_u32 v[9:10], s[0:1], v7, s20, 0
	s_load_dwordx2 s[0:1], s[6:7], 0x0
	s_add_u32 s18, s18, 1
	v_add3_u32 v4, v10, v11, v4
	v_sub_co_u32_e32 v5, vcc, v5, v9
	v_subb_co_u32_e32 v4, vcc, v6, v4, vcc
	s_waitcnt lgkmcnt(0)
	v_mul_lo_u32 v4, s0, v4
	v_mul_lo_u32 v6, s1, v5
	v_mad_u64_u32 v[1:2], s[0:1], s0, v5, v[1:2]
	s_addc_u32 s19, s19, 0
	s_add_u32 s6, s6, 8
	v_add3_u32 v2, v6, v2, v4
	v_mov_b32_e32 v4, s10
	v_mov_b32_e32 v5, s11
	s_addc_u32 s7, s7, 0
	v_cmp_ge_u64_e32 vcc, s[18:19], v[4:5]
	s_add_u32 s16, s16, 8
	s_addc_u32 s17, s17, 0
	s_cbranch_vccnz .LBB0_9
; %bb.7:                                ;   in Loop: Header=BB0_2 Depth=1
	v_mov_b32_e32 v5, v7
	v_mov_b32_e32 v6, v8
	s_branch .LBB0_2
.LBB0_8:
	v_mov_b32_e32 v8, v6
	v_mov_b32_e32 v7, v5
.LBB0_9:
	s_lshl_b64 s[0:1], s[10:11], 3
	s_add_u32 s0, s2, s0
	s_addc_u32 s1, s3, s1
	s_load_dwordx2 s[2:3], s[0:1], 0x0
	s_load_dwordx2 s[6:7], s[4:5], 0x20
	v_mov_b32_e32 v55, 0
                                        ; implicit-def: $vgpr30
                                        ; implicit-def: $vgpr32
                                        ; implicit-def: $vgpr34
                                        ; implicit-def: $vgpr36
                                        ; implicit-def: $vgpr10
                                        ; implicit-def: $vgpr12
                                        ; implicit-def: $vgpr14
                                        ; implicit-def: $vgpr16
                                        ; implicit-def: $vgpr18
                                        ; implicit-def: $vgpr22
                                        ; implicit-def: $vgpr40
                                        ; implicit-def: $vgpr38
                                        ; implicit-def: $vgpr28
                                        ; implicit-def: $vgpr26
                                        ; implicit-def: $vgpr24
                                        ; implicit-def: $vgpr20
	s_waitcnt lgkmcnt(0)
	v_mad_u64_u32 v[1:2], s[0:1], s2, v7, v[1:2]
	s_mov_b32 s0, 0x226b903
	v_mul_lo_u32 v3, s2, v8
	v_mul_lo_u32 v4, s3, v7
	v_mul_hi_u32 v5, v0, s0
	v_cmp_gt_u64_e32 vcc, s[6:7], v[7:8]
	v_add3_u32 v2, v4, v2, v3
	v_mul_u32_u24_e32 v3, 0x77, v5
	v_sub_u32_e32 v0, v0, v3
	v_mov_b32_e32 v4, 0
	v_mov_b32_e32 v3, 0
	s_and_saveexec_b64 s[2:3], vcc
	s_cbranch_execz .LBB0_13
; %bb.10:
	v_cmp_gt_u32_e64 s[0:1], 63, v0
	v_mov_b32_e32 v3, 0
	v_mov_b32_e32 v4, 0
                                        ; implicit-def: $vgpr19
                                        ; implicit-def: $vgpr23
                                        ; implicit-def: $vgpr25
                                        ; implicit-def: $vgpr27
                                        ; implicit-def: $vgpr37
                                        ; implicit-def: $vgpr39
                                        ; implicit-def: $vgpr21
                                        ; implicit-def: $vgpr17
                                        ; implicit-def: $vgpr15
                                        ; implicit-def: $vgpr13
                                        ; implicit-def: $vgpr11
                                        ; implicit-def: $vgpr9
                                        ; implicit-def: $vgpr35
                                        ; implicit-def: $vgpr33
                                        ; implicit-def: $vgpr31
                                        ; implicit-def: $vgpr29
	s_and_saveexec_b64 s[4:5], s[0:1]
	s_cbranch_execz .LBB0_12
; %bb.11:
	v_mad_u64_u32 v[3:4], s[0:1], s12, v0, 0
	v_add_u32_e32 v10, 63, v0
	v_mad_u64_u32 v[7:8], s[0:1], s12, v10, 0
	v_mad_u64_u32 v[4:5], s[0:1], s13, v0, v[4:5]
	v_lshlrev_b64 v[5:6], 3, v[1:2]
	v_mov_b32_e32 v9, s15
	v_add_co_u32_e64 v11, s[0:1], s14, v5
	v_mov_b32_e32 v5, v8
	v_addc_co_u32_e64 v12, s[0:1], v9, v6, s[0:1]
	v_mad_u64_u32 v[5:6], s[0:1], s13, v10, v[5:6]
	v_add_u32_e32 v6, 0x7e, v0
	v_mad_u64_u32 v[9:10], s[0:1], s12, v6, 0
	v_lshlrev_b64 v[3:4], 3, v[3:4]
	v_mov_b32_e32 v8, v5
	v_add_co_u32_e64 v37, s[0:1], v11, v3
	v_mov_b32_e32 v5, v10
	v_addc_co_u32_e64 v38, s[0:1], v12, v4, s[0:1]
	v_lshlrev_b64 v[3:4], 3, v[7:8]
	v_mad_u64_u32 v[5:6], s[0:1], s13, v6, v[5:6]
	v_add_u32_e32 v8, 0xbd, v0
	v_mad_u64_u32 v[6:7], s[0:1], s12, v8, 0
	v_add_co_u32_e64 v39, s[0:1], v11, v3
	v_mov_b32_e32 v10, v5
	v_mov_b32_e32 v5, v7
	v_addc_co_u32_e64 v40, s[0:1], v12, v4, s[0:1]
	v_lshlrev_b64 v[3:4], 3, v[9:10]
	v_mad_u64_u32 v[7:8], s[0:1], s13, v8, v[5:6]
	v_add_u32_e32 v10, 0xfc, v0
	v_mad_u64_u32 v[8:9], s[0:1], s12, v10, 0
	v_add_co_u32_e64 v41, s[0:1], v11, v3
	v_mov_b32_e32 v5, v9
	v_addc_co_u32_e64 v42, s[0:1], v12, v4, s[0:1]
	v_lshlrev_b64 v[3:4], 3, v[6:7]
	v_mad_u64_u32 v[5:6], s[0:1], s13, v10, v[5:6]
	v_add_u32_e32 v10, 0x13b, v0
	v_mad_u64_u32 v[6:7], s[0:1], s12, v10, 0
	v_add_co_u32_e64 v43, s[0:1], v11, v3
	v_mov_b32_e32 v9, v5
	v_mov_b32_e32 v5, v7
	v_addc_co_u32_e64 v44, s[0:1], v12, v4, s[0:1]
	v_lshlrev_b64 v[3:4], 3, v[8:9]
	v_mad_u64_u32 v[7:8], s[0:1], s13, v10, v[5:6]
	v_add_u32_e32 v10, 0x17a, v0
	v_mad_u64_u32 v[8:9], s[0:1], s12, v10, 0
	v_add_co_u32_e64 v45, s[0:1], v11, v3
	v_mov_b32_e32 v5, v9
	v_addc_co_u32_e64 v46, s[0:1], v12, v4, s[0:1]
	v_lshlrev_b64 v[3:4], 3, v[6:7]
	v_mad_u64_u32 v[5:6], s[0:1], s13, v10, v[5:6]
	v_add_u32_e32 v10, 0x1b9, v0
	v_mad_u64_u32 v[6:7], s[0:1], s12, v10, 0
	v_add_co_u32_e64 v47, s[0:1], v11, v3
	v_mov_b32_e32 v9, v5
	v_mov_b32_e32 v5, v7
	v_addc_co_u32_e64 v48, s[0:1], v12, v4, s[0:1]
	v_lshlrev_b64 v[3:4], 3, v[8:9]
	v_mad_u64_u32 v[7:8], s[0:1], s13, v10, v[5:6]
	v_add_u32_e32 v10, 0x1f8, v0
	v_mad_u64_u32 v[8:9], s[0:1], s12, v10, 0
	v_add_co_u32_e64 v49, s[0:1], v11, v3
	v_mov_b32_e32 v5, v9
	v_addc_co_u32_e64 v50, s[0:1], v12, v4, s[0:1]
	v_lshlrev_b64 v[3:4], 3, v[6:7]
	v_mad_u64_u32 v[5:6], s[0:1], s13, v10, v[5:6]
	v_add_u32_e32 v10, 0x237, v0
	v_mad_u64_u32 v[6:7], s[0:1], s12, v10, 0
	v_add_co_u32_e64 v51, s[0:1], v11, v3
	v_mov_b32_e32 v9, v5
	v_mov_b32_e32 v5, v7
	v_addc_co_u32_e64 v52, s[0:1], v12, v4, s[0:1]
	v_lshlrev_b64 v[3:4], 3, v[8:9]
	v_mad_u64_u32 v[7:8], s[0:1], s13, v10, v[5:6]
	v_add_u32_e32 v10, 0x276, v0
	v_mad_u64_u32 v[8:9], s[0:1], s12, v10, 0
	v_add_co_u32_e64 v53, s[0:1], v11, v3
	v_mov_b32_e32 v5, v9
	v_addc_co_u32_e64 v54, s[0:1], v12, v4, s[0:1]
	v_lshlrev_b64 v[3:4], 3, v[6:7]
	v_mad_u64_u32 v[5:6], s[0:1], s13, v10, v[5:6]
	v_add_u32_e32 v10, 0x2b5, v0
	v_mad_u64_u32 v[6:7], s[0:1], s12, v10, 0
	v_add_co_u32_e64 v55, s[0:1], v11, v3
	v_mov_b32_e32 v9, v5
	v_mov_b32_e32 v5, v7
	v_addc_co_u32_e64 v56, s[0:1], v12, v4, s[0:1]
	v_lshlrev_b64 v[3:4], 3, v[8:9]
	v_mad_u64_u32 v[7:8], s[0:1], s13, v10, v[5:6]
	v_add_u32_e32 v10, 0x2f4, v0
	v_mad_u64_u32 v[8:9], s[0:1], s12, v10, 0
	v_add_co_u32_e64 v57, s[0:1], v11, v3
	v_mov_b32_e32 v5, v9
	v_addc_co_u32_e64 v58, s[0:1], v12, v4, s[0:1]
	v_lshlrev_b64 v[3:4], 3, v[6:7]
	v_mad_u64_u32 v[5:6], s[0:1], s13, v10, v[5:6]
	v_add_u32_e32 v10, 0x333, v0
	v_mad_u64_u32 v[6:7], s[0:1], s12, v10, 0
	v_add_co_u32_e64 v59, s[0:1], v11, v3
	v_mov_b32_e32 v9, v5
	v_mov_b32_e32 v5, v7
	v_addc_co_u32_e64 v60, s[0:1], v12, v4, s[0:1]
	v_lshlrev_b64 v[3:4], 3, v[8:9]
	v_mad_u64_u32 v[7:8], s[0:1], s13, v10, v[5:6]
	v_add_u32_e32 v10, 0x372, v0
	v_mad_u64_u32 v[8:9], s[0:1], s12, v10, 0
	v_add_co_u32_e64 v61, s[0:1], v11, v3
	v_mov_b32_e32 v5, v9
	v_addc_co_u32_e64 v62, s[0:1], v12, v4, s[0:1]
	v_lshlrev_b64 v[3:4], 3, v[6:7]
	v_mad_u64_u32 v[5:6], s[0:1], s13, v10, v[5:6]
	v_add_u32_e32 v10, 0x3b1, v0
	v_mad_u64_u32 v[6:7], s[0:1], s12, v10, 0
	v_add_co_u32_e64 v63, s[0:1], v11, v3
	v_mov_b32_e32 v9, v5
	v_mov_b32_e32 v5, v7
	v_addc_co_u32_e64 v64, s[0:1], v12, v4, s[0:1]
	v_lshlrev_b64 v[3:4], 3, v[8:9]
	v_mad_u64_u32 v[7:8], s[0:1], s13, v10, v[5:6]
	v_add_u32_e32 v10, 0x3f0, v0
	v_mad_u64_u32 v[8:9], s[0:1], s12, v10, 0
	v_add_co_u32_e64 v65, s[0:1], v11, v3
	v_mov_b32_e32 v5, v9
	v_addc_co_u32_e64 v66, s[0:1], v12, v4, s[0:1]
	v_lshlrev_b64 v[3:4], 3, v[6:7]
	v_mad_u64_u32 v[5:6], s[0:1], s13, v10, v[5:6]
	v_add_co_u32_e64 v6, s[0:1], v11, v3
	v_mov_b32_e32 v9, v5
	v_addc_co_u32_e64 v7, s[0:1], v12, v4, s[0:1]
	v_lshlrev_b64 v[3:4], 3, v[8:9]
	v_add_co_u32_e64 v67, s[0:1], v11, v3
	v_addc_co_u32_e64 v68, s[0:1], v12, v4, s[0:1]
	global_load_dwordx2 v[3:4], v[37:38], off
	global_load_dwordx2 v[29:30], v[39:40], off
	;; [unrolled: 1-line block ×15, first 2 shown]
                                        ; kill: killed $vgpr63 killed $vgpr64
                                        ; kill: killed $vgpr53 killed $vgpr54
                                        ; kill: killed $vgpr43 killed $vgpr44
                                        ; kill: killed $vgpr57 killed $vgpr58
                                        ; kill: killed $vgpr47 killed $vgpr48
                                        ; kill: killed $vgpr37 killed $vgpr38
                                        ; kill: killed $vgpr61 killed $vgpr62
                                        ; kill: killed $vgpr51 killed $vgpr52
                                        ; kill: killed $vgpr41 killed $vgpr42
                                        ; kill: killed $vgpr65 killed $vgpr66
                                        ; kill: killed $vgpr55 killed $vgpr56
                                        ; kill: killed $vgpr45 killed $vgpr46
                                        ; kill: killed $vgpr59 killed $vgpr60
                                        ; kill: killed $vgpr49 killed $vgpr50
                                        ; kill: killed $vgpr39 killed $vgpr40
	global_load_dwordx2 v[37:38], v[6:7], off
	global_load_dwordx2 v[39:40], v[67:68], off
.LBB0_12:
	s_or_b64 exec, exec, s[4:5]
	v_mov_b32_e32 v55, v0
.LBB0_13:
	s_or_b64 exec, exec, s[2:3]
	s_waitcnt vmcnt(0)
	v_sub_f32_e32 v43, v30, v40
	v_add_f32_e32 v45, v29, v39
	s_mov_b32 s1, 0xbe8c1d8e
	v_mul_f32_e32 v61, 0xbf763a35, v43
	v_sub_f32_e32 v44, v32, v38
	v_fma_f32 v5, v45, s1, -v61
	s_mov_b32 s2, 0xbf59a7d5
	v_add_f32_e32 v47, v31, v37
	v_mul_f32_e32 v63, 0x3f06c442, v44
	v_add_f32_e32 v5, v3, v5
	s_mov_b32 s0, 0xbf1a4643
	v_mul_f32_e32 v62, 0xbf4c4adb, v43
	v_fma_f32 v6, v47, s2, -v63
	v_add_f32_e32 v5, v5, v6
	v_fma_f32 v6, v45, s0, -v62
	v_mul_f32_e32 v64, 0x3f763a35, v44
	v_sub_f32_e32 v46, v34, v28
	v_add_f32_e32 v6, v3, v6
	v_fma_f32 v7, v47, s1, -v64
	s_mov_b32 s3, 0x3f3d2fb0
	v_add_f32_e32 v49, v33, v27
	v_mul_f32_e32 v65, 0x3f2c7751, v46
	v_add_f32_e32 v6, v6, v7
	v_fma_f32 v7, v49, s3, -v65
	s_mov_b32 s4, 0x3f6eb680
	v_mul_f32_e32 v66, 0xbeb8f4ab, v46
	v_sub_f32_e32 v48, v36, v26
	v_add_f32_e32 v5, v5, v7
	v_fma_f32 v7, v49, s4, -v66
	s_mov_b32 s5, 0x3ee437d1
	v_add_f32_e32 v51, v35, v25
	v_mul_f32_e32 v67, 0xbf65296c, v48
	v_add_f32_e32 v6, v6, v7
	v_fma_f32 v7, v51, s5, -v67
	v_mul_f32_e32 v68, 0xbf06c442, v48
	v_sub_f32_e32 v50, v10, v24
	v_add_f32_e32 v5, v5, v7
	v_fma_f32 v7, v51, s2, -v68
	s_mov_b32 s6, 0xbf7ba420
	v_add_f32_e32 v53, v9, v23
	v_mul_f32_e32 v69, 0xbe3c28d5, v50
	v_add_f32_e32 v6, v6, v7
	v_fma_f32 v7, v53, s6, -v69
	s_mov_b32 s7, 0x3dbcf732
	v_mul_f32_e32 v70, 0x3f7ee86f, v50
	v_sub_f32_e32 v52, v12, v22
	v_add_f32_e32 v5, v5, v7
	v_fma_f32 v7, v53, s7, -v70
	v_add_f32_e32 v56, v11, v21
	v_mul_f32_e32 v71, 0x3f7ee86f, v52
	v_add_f32_e32 v6, v6, v7
	v_fma_f32 v7, v56, s7, -v71
	v_mul_f32_e32 v72, 0xbf2c7751, v52
	v_sub_f32_e32 v54, v14, v20
	v_add_f32_e32 v5, v7, v5
	v_fma_f32 v7, v56, s3, -v72
	v_add_f32_e32 v59, v13, v19
	v_mul_f32_e32 v73, 0xbeb8f4ab, v54
	v_add_f32_e32 v6, v7, v6
	v_fma_f32 v7, v59, s4, -v73
	;; [unrolled: 8-line block ×3, first 2 shown]
	v_mul_f32_e32 v76, 0x3f65296c, v58
	v_add_f32_e32 v8, v7, v5
	v_fma_f32 v5, v60, s5, -v76
	v_mul_f32_e32 v41, 0xbf06c442, v43
	v_add_f32_e32 v7, v5, v6
	v_mov_b32_e32 v5, v41
	v_mul_f32_e32 v42, 0x3f65296c, v44
	v_fmac_f32_e32 v5, 0xbf59a7d5, v45
	v_mov_b32_e32 v6, v42
	v_add_f32_e32 v5, v3, v5
	v_fmac_f32_e32 v6, 0x3ee437d1, v47
	v_mul_f32_e32 v57, 0xbe3c28d5, v43
	v_add_f32_e32 v5, v5, v6
	v_mov_b32_e32 v6, v57
	v_mul_f32_e32 v77, 0x3eb8f4ab, v44
	v_fmac_f32_e32 v6, 0xbf7ba420, v45
	v_mov_b32_e32 v78, v77
	v_add_f32_e32 v6, v3, v6
	v_fmac_f32_e32 v78, 0x3f6eb680, v47
	v_add_f32_e32 v6, v6, v78
	v_mul_f32_e32 v78, 0xbf7ee86f, v46
	v_mov_b32_e32 v79, v78
	v_fmac_f32_e32 v79, 0x3dbcf732, v49
	v_add_f32_e32 v5, v5, v79
	v_mul_f32_e32 v79, 0xbf06c442, v46
	v_mov_b32_e32 v80, v79
	;; [unrolled: 4-line block ×7, first 2 shown]
	v_fma_f32 v41, v45, s2, -v41
	v_fmac_f32_e32 v85, 0xbf7ba420, v56
	v_add_f32_e32 v41, v3, v41
	v_fma_f32 v42, v47, s5, -v42
	v_add_f32_e32 v5, v85, v5
	v_mul_f32_e32 v85, 0x3f65296c, v52
	v_add_f32_e32 v41, v41, v42
	v_fma_f32 v42, v45, s6, -v57
	v_mov_b32_e32 v86, v85
	v_add_f32_e32 v42, v3, v42
	v_fma_f32 v57, v47, s4, -v77
	v_fmac_f32_e32 v86, 0x3ee437d1, v56
	v_add_f32_e32 v42, v42, v57
	v_fma_f32 v57, v49, s7, -v78
	v_add_f32_e32 v6, v86, v6
	v_mul_f32_e32 v86, 0x3f2c7751, v54
	v_add_f32_e32 v41, v41, v57
	v_fma_f32 v57, v49, s2, -v79
	v_mov_b32_e32 v87, v86
	v_add_f32_e32 v42, v42, v57
	;; [unrolled: 10-line block ×4, first 2 shown]
	v_fma_f32 v57, v59, s3, -v86
	v_fmac_f32_e32 v89, 0xbe8c1d8e, v60
	v_add_f32_e32 v41, v41, v57
	v_fma_f32 v57, v59, s1, -v87
	v_add_f32_e32 v5, v89, v5
	v_mul_f32_e32 v89, 0x3f7ee86f, v58
	v_add_f32_e32 v57, v42, v57
	v_fma_f32 v42, v60, s1, -v88
	v_add_f32_e32 v42, v42, v41
	v_fma_f32 v41, v60, s7, -v89
	v_mul_f32_e32 v77, 0xbf7ee86f, v43
	v_add_f32_e32 v41, v41, v57
	v_fma_f32 v57, v45, s7, -v77
	v_mul_f32_e32 v78, 0xbe3c28d5, v44
	v_add_f32_e32 v57, v3, v57
	v_fma_f32 v79, v47, s6, -v78
	v_add_f32_e32 v57, v57, v79
	v_mul_f32_e32 v79, 0x3f763a35, v46
	v_fma_f32 v80, v49, s1, -v79
	v_add_f32_e32 v57, v57, v80
	v_mul_f32_e32 v80, 0x3eb8f4ab, v48
	;; [unrolled: 3-line block ×5, first 2 shown]
	v_fma_f32 v84, v59, s0, -v83
	v_mov_b32_e32 v90, v89
	v_add_f32_e32 v57, v57, v84
	v_mul_f32_e32 v84, 0x3f2c7751, v58
	v_fmac_f32_e32 v90, 0x3dbcf732, v60
	v_fma_f32 v85, v60, s3, -v84
	v_add_f32_e32 v6, v90, v6
	v_add_f32_e32 v57, v85, v57
	v_cmp_gt_u32_e64 s[2:3], 63, v0
	s_and_saveexec_b64 s[0:1], s[2:3]
	s_cbranch_execz .LBB0_15
; %bb.14:
	v_mul_f32_e32 v86, 0xbe8c1d8e, v45
	v_mul_f32_e32 v87, 0xbf1a4643, v45
	;; [unrolled: 1-line block ×3, first 2 shown]
	v_add_f32_e32 v61, v61, v86
	v_mul_f32_e32 v90, 0xbe8c1d8e, v47
	v_mul_f32_e32 v92, 0x3f3d2fb0, v49
	v_add_f32_e32 v62, v62, v87
	v_add_f32_e32 v61, v3, v61
	v_add_f32_e32 v63, v63, v89
	v_mul_f32_e32 v93, 0x3f6eb680, v49
	v_mul_f32_e32 v95, 0x3ee437d1, v51
	v_add_f32_e32 v62, v3, v62
	v_add_f32_e32 v64, v64, v90
	v_add_f32_e32 v61, v61, v63
	v_add_f32_e32 v63, v65, v92
	v_mul_f32_e32 v96, 0xbf59a7d5, v51
	v_mul_f32_e32 v98, 0xbf7ba420, v53
	v_add_f32_e32 v62, v62, v64
	;; [unrolled: 6-line block ×6, first 2 shown]
	v_add_f32_e32 v64, v74, v105
	v_add_f32_e32 v61, v61, v63
	;; [unrolled: 1-line block ×3, first 2 shown]
	v_mul_f32_e32 v88, 0xbf7ba420, v47
	v_add_f32_e32 v62, v62, v64
	v_add_f32_e32 v64, v76, v108
	;; [unrolled: 1-line block ×4, first 2 shown]
	v_mul_f32_e32 v91, 0xbe8c1d8e, v49
	v_add_f32_e32 v62, v64, v62
	v_add_f32_e32 v63, v3, v63
	;; [unrolled: 1-line block ×3, first 2 shown]
	v_mul_f32_e32 v94, 0x3f6eb680, v51
	v_add_f32_e32 v63, v63, v64
	v_add_f32_e32 v64, v79, v91
	v_mul_f32_e32 v97, 0x3ee437d1, v53
	v_add_f32_e32 v63, v63, v64
	v_add_f32_e32 v64, v80, v94
	;; [unrolled: 3-line block ×5, first 2 shown]
	v_add_f32_e32 v63, v63, v64
	v_add_f32_e32 v64, v84, v106
	;; [unrolled: 1-line block ×3, first 2 shown]
	v_mul_f32_e32 v64, 0x3ee437d1, v45
	v_mov_b32_e32 v65, v64
	v_mul_f32_e32 v66, 0xbf1a4643, v47
	v_fmac_f32_e32 v65, 0x3f65296c, v43
	v_mov_b32_e32 v67, v66
	v_add_f32_e32 v65, v3, v65
	v_fmac_f32_e32 v67, 0x3f4c4adb, v44
	v_add_f32_e32 v65, v65, v67
	v_mul_f32_e32 v67, 0xbf7ba420, v49
	v_mov_b32_e32 v68, v67
	v_fmac_f32_e32 v68, 0xbe3c28d5, v46
	v_add_f32_e32 v65, v65, v68
	v_mul_f32_e32 v68, 0xbe8c1d8e, v51
	v_fmac_f32_e32 v64, 0xbf65296c, v43
	v_mov_b32_e32 v69, v68
	v_add_f32_e32 v64, v3, v64
	v_fmac_f32_e32 v66, 0xbf4c4adb, v44
	v_fmac_f32_e32 v69, 0xbf763a35, v48
	v_add_f32_e32 v64, v64, v66
	v_fmac_f32_e32 v67, 0x3e3c28d5, v46
	v_add_f32_e32 v65, v65, v69
	v_mul_f32_e32 v69, 0x3f3d2fb0, v53
	v_add_f32_e32 v64, v64, v67
	v_fmac_f32_e32 v68, 0x3f763a35, v48
	v_mul_f32_e32 v66, 0x3f3d2fb0, v45
	v_mov_b32_e32 v70, v69
	v_add_f32_e32 v64, v64, v68
	v_fmac_f32_e32 v69, 0x3f2c7751, v50
	v_mov_b32_e32 v67, v66
	v_mul_f32_e32 v68, 0x3dbcf732, v47
	v_fmac_f32_e32 v70, 0xbf2c7751, v50
	v_add_f32_e32 v64, v64, v69
	v_fmac_f32_e32 v67, 0x3f2c7751, v43
	v_mov_b32_e32 v69, v68
	v_fmac_f32_e32 v66, 0xbf2c7751, v43
	v_add_f32_e32 v65, v65, v70
	v_mul_f32_e32 v70, 0x3f6eb680, v56
	v_add_f32_e32 v67, v3, v67
	v_fmac_f32_e32 v69, 0x3f7ee86f, v44
	v_add_f32_e32 v66, v3, v66
	v_fmac_f32_e32 v68, 0xbf7ee86f, v44
	v_mul_f32_e32 v45, 0x3f6eb680, v45
	v_mov_b32_e32 v71, v70
	v_fmac_f32_e32 v70, 0xbeb8f4ab, v52
	v_add_f32_e32 v67, v67, v69
	v_mul_f32_e32 v69, 0xbf1a4643, v49
	v_add_f32_e32 v66, v66, v68
	v_mov_b32_e32 v68, v45
	v_fmac_f32_e32 v71, 0x3eb8f4ab, v52
	v_add_f32_e32 v64, v70, v64
	v_mov_b32_e32 v70, v69
	v_fmac_f32_e32 v68, 0x3eb8f4ab, v43
	v_fmac_f32_e32 v45, 0xbeb8f4ab, v43
	v_add_f32_e32 v65, v71, v65
	v_mul_f32_e32 v71, 0x3dbcf732, v59
	v_fmac_f32_e32 v70, 0x3f4c4adb, v46
	v_add_f32_e32 v68, v3, v68
	v_add_f32_e32 v43, v3, v45
	;; [unrolled: 1-line block ×3, first 2 shown]
	v_mov_b32_e32 v72, v71
	v_fmac_f32_e32 v71, 0xbf7ee86f, v54
	v_add_f32_e32 v67, v67, v70
	v_mul_f32_e32 v70, 0xbf7ba420, v51
	v_fmac_f32_e32 v69, 0xbf4c4adb, v46
	v_mul_f32_e32 v47, 0x3f3d2fb0, v47
	v_add_f32_e32 v3, v3, v31
	v_fmac_f32_e32 v72, 0x3f7ee86f, v54
	v_add_f32_e32 v64, v64, v71
	v_mov_b32_e32 v71, v70
	v_add_f32_e32 v66, v66, v69
	v_mov_b32_e32 v69, v47
	v_add_f32_e32 v3, v3, v33
	v_add_f32_e32 v65, v65, v72
	v_mul_f32_e32 v72, 0xbf59a7d5, v60
	v_fmac_f32_e32 v71, 0x3e3c28d5, v48
	v_fmac_f32_e32 v69, 0x3f2c7751, v44
	v_mul_f32_e32 v49, 0x3ee437d1, v49
	v_add_f32_e32 v3, v3, v35
	v_mov_b32_e32 v73, v72
	v_fmac_f32_e32 v72, 0xbf06c442, v58
	v_add_f32_e32 v67, v67, v71
	v_mul_f32_e32 v71, 0xbf59a7d5, v53
	v_add_f32_e32 v68, v68, v69
	v_mov_b32_e32 v69, v49
	v_add_f32_e32 v3, v3, v9
	v_add_f32_e32 v64, v72, v64
	v_mov_b32_e32 v72, v71
	v_fmac_f32_e32 v69, 0x3f65296c, v46
	v_mul_f32_e32 v51, 0x3dbcf732, v51
	v_add_f32_e32 v3, v3, v11
	v_fmac_f32_e32 v72, 0xbf06c442, v50
	v_add_f32_e32 v68, v68, v69
	v_mov_b32_e32 v69, v51
	v_add_f32_e32 v3, v3, v13
	v_fmac_f32_e32 v73, 0x3f06c442, v58
	v_add_f32_e32 v67, v67, v72
	v_mul_f32_e32 v72, 0xbe8c1d8e, v56
	v_fmac_f32_e32 v69, 0x3f7ee86f, v48
	v_mul_f32_e32 v53, 0xbe8c1d8e, v53
	v_add_f32_e32 v3, v3, v15
	v_add_f32_e32 v65, v73, v65
	v_mov_b32_e32 v73, v72
	v_add_f32_e32 v68, v68, v69
	v_mov_b32_e32 v69, v53
	v_fmac_f32_e32 v47, 0xbf2c7751, v44
	v_add_f32_e32 v3, v3, v17
	v_fmac_f32_e32 v73, 0xbf763a35, v52
	v_fmac_f32_e32 v69, 0x3f763a35, v50
	v_mul_f32_e32 v56, 0xbf1a4643, v56
	v_add_f32_e32 v43, v43, v47
	v_fmac_f32_e32 v49, 0xbf65296c, v46
	v_add_f32_e32 v3, v3, v19
	v_add_f32_e32 v67, v73, v67
	v_mul_f32_e32 v73, 0x3ee437d1, v59
	v_add_f32_e32 v68, v68, v69
	v_mov_b32_e32 v69, v56
	v_add_f32_e32 v43, v43, v49
	v_fmac_f32_e32 v51, 0xbf7ee86f, v48
	v_add_f32_e32 v3, v21, v3
	v_mov_b32_e32 v74, v73
	v_fmac_f32_e32 v70, 0xbe3c28d5, v48
	v_fmac_f32_e32 v69, 0x3f4c4adb, v52
	v_mul_f32_e32 v59, 0xbf59a7d5, v59
	v_add_f32_e32 v43, v43, v51
	v_fmac_f32_e32 v53, 0xbf763a35, v50
	v_add_f32_e32 v3, v23, v3
	v_fmac_f32_e32 v74, 0xbf65296c, v54
	v_add_f32_e32 v66, v66, v70
	v_fmac_f32_e32 v71, 0x3f06c442, v50
	v_add_f32_e32 v68, v69, v68
	v_mov_b32_e32 v69, v59
	v_add_f32_e32 v43, v43, v53
	v_fmac_f32_e32 v56, 0xbf4c4adb, v52
	v_add_f32_e32 v3, v25, v3
	v_add_f32_e32 v67, v67, v74
	v_mul_f32_e32 v74, 0x3f6eb680, v60
	v_add_f32_e32 v66, v66, v71
	v_fmac_f32_e32 v72, 0x3f763a35, v52
	v_fmac_f32_e32 v69, 0x3f06c442, v54
	v_mul_f32_e32 v60, 0xbf7ba420, v60
	v_add_f32_e32 v43, v56, v43
	v_fmac_f32_e32 v59, 0xbf06c442, v54
	v_add_f32_e32 v3, v27, v3
	v_mov_b32_e32 v75, v74
	v_add_f32_e32 v66, v72, v66
	v_fmac_f32_e32 v73, 0x3f65296c, v54
	v_add_f32_e32 v68, v68, v69
	v_mov_b32_e32 v69, v60
	v_add_f32_e32 v43, v43, v59
	v_fmac_f32_e32 v60, 0xbe3c28d5, v58
	v_add_f32_e32 v3, v37, v3
	s_movk_i32 s4, 0x44
	v_fmac_f32_e32 v75, 0xbeb8f4ab, v58
	v_add_f32_e32 v66, v66, v73
	v_fmac_f32_e32 v74, 0x3eb8f4ab, v58
	v_fmac_f32_e32 v69, 0x3e3c28d5, v58
	v_add_f32_e32 v43, v60, v43
	v_add_f32_e32 v3, v39, v3
	v_mad_u32_u24 v44, v0, s4, 0
	v_add_f32_e32 v67, v75, v67
	v_add_f32_e32 v66, v74, v66
	;; [unrolled: 1-line block ×3, first 2 shown]
	ds_write2_b32 v44, v3, v43 offset1:1
	ds_write2_b32 v44, v66, v64 offset0:2 offset1:3
	ds_write2_b32 v44, v63, v61 offset0:4 offset1:5
	;; [unrolled: 1-line block ×7, first 2 shown]
	ds_write_b32 v44, v68 offset:64
.LBB0_15:
	s_or_b64 exec, exec, s[0:1]
	v_lshl_add_u32 v56, v0, 2, 0
	v_add_u32_e32 v3, 0x400, v56
	s_waitcnt lgkmcnt(0)
	s_barrier
	ds_read2_b32 v[47:48], v3 offset0:50 offset1:203
	v_add_u32_e32 v3, 0x800, v56
	ds_read2_b32 v[43:44], v56 offset1:153
	ds_read2_b32 v[45:46], v3 offset0:100 offset1:253
	ds_read_b32 v58, v56 offset:3672
	v_cmp_gt_u32_e64 s[0:1], 34, v0
	s_and_saveexec_b64 s[4:5], s[0:1]
	s_cbranch_execz .LBB0_17
; %bb.16:
	v_add_u32_e32 v3, 0x100, v56
	ds_read2_b32 v[5:6], v3 offset0:55 offset1:208
	v_add_u32_e32 v3, 0x600, v56
	ds_read2_b32 v[41:42], v3 offset0:41 offset1:194
	v_add_u32_e32 v3, 0xa00, v56
	ds_read2_b32 v[7:8], v3 offset0:91 offset1:244
	ds_read_b32 v57, v56 offset:4148
.LBB0_17:
	s_or_b64 exec, exec, s[4:5]
	v_sub_f32_e32 v59, v29, v39
	v_add_f32_e32 v3, v30, v40
	v_mul_f32_e32 v29, 0xbf7ee86f, v59
	v_mul_f32_e32 v54, 0xbe3c28d5, v59
	s_mov_b32 s10, 0xbf7ba420
	v_sub_f32_e32 v64, v31, v37
	v_mov_b32_e32 v39, v29
	v_fma_f32 v61, v3, s10, -v54
	v_mul_f32_e32 v31, 0xbe3c28d5, v64
	v_fmac_f32_e32 v39, 0x3dbcf732, v3
	v_add_f32_e32 v63, v4, v61
	v_add_f32_e32 v61, v32, v38
	v_mov_b32_e32 v37, v31
	v_add_f32_e32 v49, v4, v39
	v_mul_f32_e32 v39, 0xbf763a35, v59
	v_fmac_f32_e32 v37, 0xbf7ba420, v61
	v_mov_b32_e32 v50, v39
	v_add_f32_e32 v49, v49, v37
	v_mul_f32_e32 v37, 0x3f06c442, v64
	v_fmac_f32_e32 v50, 0xbe8c1d8e, v3
	;; [unrolled: 4-line block ×4, first 2 shown]
	v_mov_b32_e32 v65, v62
	v_add_f32_e32 v51, v4, v51
	v_mul_f32_e32 v52, 0xbf06c442, v59
	s_mov_b32 s6, 0xbf59a7d5
	v_fmac_f32_e32 v65, 0xbe8c1d8e, v61
	v_fma_f32 v53, v3, s6, -v52
	v_fmac_f32_e32 v52, 0xbf59a7d5, v3
	v_add_f32_e32 v51, v51, v65
	v_mul_f32_e32 v65, 0x3f65296c, v64
	s_mov_b32 s18, 0x3ee437d1
	v_add_f32_e32 v52, v4, v52
	v_fma_f32 v66, v61, s18, -v65
	v_fmac_f32_e32 v65, 0x3ee437d1, v61
	v_add_f32_e32 v53, v4, v53
	v_add_f32_e32 v52, v52, v65
	v_mul_f32_e32 v65, 0x3eb8f4ab, v64
	s_mov_b32 s11, 0x3f6eb680
	v_add_f32_e32 v53, v53, v66
	v_fma_f32 v66, v61, s11, -v65
	v_add_f32_e32 v68, v63, v66
	v_sub_f32_e32 v66, v33, v27
	v_mul_f32_e32 v27, 0x3f763a35, v66
	v_add_f32_e32 v63, v34, v28
	v_mov_b32_e32 v33, v27
	v_fmac_f32_e32 v54, 0xbf7ba420, v3
	v_fmac_f32_e32 v33, 0xbe8c1d8e, v63
	v_add_f32_e32 v54, v4, v54
	v_fmac_f32_e32 v65, 0x3f6eb680, v61
	v_add_f32_e32 v49, v49, v33
	v_mul_f32_e32 v33, 0x3f2c7751, v66
	v_add_f32_e32 v54, v54, v65
	v_mov_b32_e32 v65, v33
	v_fmac_f32_e32 v65, 0x3f3d2fb0, v63
	v_mul_f32_e32 v67, 0xbeb8f4ab, v66
	v_add_f32_e32 v50, v50, v65
	v_mov_b32_e32 v65, v67
	v_fmac_f32_e32 v65, 0x3f6eb680, v63
	v_add_f32_e32 v51, v51, v65
	v_mul_f32_e32 v65, 0xbf7ee86f, v66
	v_fma_f32 v69, v63, s7, -v65
	v_fmac_f32_e32 v65, 0x3dbcf732, v63
	v_add_f32_e32 v52, v52, v65
	v_mul_f32_e32 v65, 0xbf06c442, v66
	v_sub_f32_e32 v71, v35, v25
	v_add_f32_e32 v53, v53, v69
	v_fma_f32 v69, v63, s6, -v65
	v_fmac_f32_e32 v65, 0xbf59a7d5, v63
	v_mul_f32_e32 v25, 0x3eb8f4ab, v71
	v_add_f32_e32 v54, v54, v65
	v_add_f32_e32 v65, v36, v26
	v_mov_b32_e32 v35, v25
	v_fmac_f32_e32 v35, 0x3f6eb680, v65
	v_add_f32_e32 v49, v49, v35
	v_mul_f32_e32 v35, 0xbf65296c, v71
	v_add_f32_e32 v68, v68, v69
	v_mov_b32_e32 v69, v35
	v_fmac_f32_e32 v69, 0x3ee437d1, v65
	v_add_f32_e32 v50, v50, v69
	v_mul_f32_e32 v69, 0xbf06c442, v71
	v_mov_b32_e32 v70, v69
	v_fmac_f32_e32 v70, 0xbf59a7d5, v65
	s_mov_b32 s17, 0xbf1a4643
	v_add_f32_e32 v51, v51, v70
	v_mul_f32_e32 v70, 0x3f4c4adb, v71
	v_fma_f32 v72, v65, s17, -v70
	v_fmac_f32_e32 v70, 0xbf1a4643, v65
	s_mov_b32 s19, 0x3f3d2fb0
	v_add_f32_e32 v52, v52, v70
	v_mul_f32_e32 v70, 0x3f2c7751, v71
	v_sub_f32_e32 v74, v9, v23
	v_add_f32_e32 v53, v53, v72
	v_fma_f32 v72, v65, s19, -v70
	v_mul_f32_e32 v9, 0xbf65296c, v74
	v_add_f32_e32 v73, v68, v72
	v_add_f32_e32 v68, v10, v24
	v_mov_b32_e32 v23, v9
	v_fmac_f32_e32 v23, 0x3ee437d1, v68
	v_fmac_f32_e32 v70, 0x3f3d2fb0, v65
	v_add_f32_e32 v49, v49, v23
	v_mul_f32_e32 v23, 0xbe3c28d5, v74
	v_add_f32_e32 v54, v54, v70
	v_mov_b32_e32 v70, v23
	v_fmac_f32_e32 v70, 0xbf7ba420, v68
	v_mul_f32_e32 v72, 0x3f7ee86f, v74
	v_add_f32_e32 v50, v50, v70
	v_mov_b32_e32 v70, v72
	v_fmac_f32_e32 v70, 0x3dbcf732, v68
	v_add_f32_e32 v51, v51, v70
	v_mul_f32_e32 v70, 0xbeb8f4ab, v74
	v_fma_f32 v75, v68, s11, -v70
	v_fmac_f32_e32 v70, 0x3f6eb680, v68
	v_add_f32_e32 v52, v52, v70
	v_mul_f32_e32 v70, 0xbf4c4adb, v74
	v_sub_f32_e32 v78, v11, v21
	v_add_f32_e32 v53, v53, v75
	v_fma_f32 v75, v68, s17, -v70
	v_fmac_f32_e32 v70, 0xbf1a4643, v68
	v_mul_f32_e32 v11, 0xbf06c442, v78
	v_add_f32_e32 v54, v54, v70
	v_add_f32_e32 v70, v12, v22
	v_mov_b32_e32 v21, v11
	v_fmac_f32_e32 v21, 0xbf59a7d5, v70
	v_add_f32_e32 v49, v21, v49
	v_mul_f32_e32 v21, 0x3f7ee86f, v78
	v_add_f32_e32 v73, v73, v75
	v_mov_b32_e32 v75, v21
	v_fmac_f32_e32 v75, 0x3dbcf732, v70
	v_add_f32_e32 v50, v75, v50
	v_mul_f32_e32 v75, 0xbf2c7751, v78
	v_mov_b32_e32 v76, v75
	v_fmac_f32_e32 v76, 0x3f3d2fb0, v70
	v_add_f32_e32 v51, v76, v51
	v_mul_f32_e32 v76, 0xbe3c28d5, v78
	v_fma_f32 v77, v70, s10, -v76
	v_fmac_f32_e32 v76, 0xbf7ba420, v70
	v_add_f32_e32 v52, v76, v52
	v_mul_f32_e32 v76, 0x3f65296c, v78
	v_sub_f32_e32 v80, v13, v19
	v_add_f32_e32 v53, v77, v53
	v_fma_f32 v77, v70, s18, -v76
	v_mul_f32_e32 v19, 0x3f4c4adb, v80
	v_add_f32_e32 v77, v77, v73
	v_fmac_f32_e32 v76, 0x3ee437d1, v70
	v_add_f32_e32 v73, v14, v20
	v_mov_b32_e32 v13, v19
	v_add_f32_e32 v54, v76, v54
	v_fmac_f32_e32 v13, 0xbf1a4643, v73
	v_mul_f32_e32 v76, 0xbeb8f4ab, v80
	v_add_f32_e32 v13, v49, v13
	v_mov_b32_e32 v49, v76
	v_fmac_f32_e32 v49, 0x3f6eb680, v73
	v_mul_f32_e32 v79, 0xbe3c28d5, v80
	v_add_f32_e32 v49, v50, v49
	v_mov_b32_e32 v50, v79
	v_fmac_f32_e32 v50, 0xbf7ba420, v73
	v_add_f32_e32 v50, v51, v50
	v_mul_f32_e32 v51, 0x3f2c7751, v80
	v_fma_f32 v81, v73, s19, -v51
	v_fmac_f32_e32 v51, 0x3f3d2fb0, v73
	s_mov_b32 s16, 0xbe8c1d8e
	v_add_f32_e32 v83, v52, v51
	v_mul_f32_e32 v51, 0xbf763a35, v80
	v_sub_f32_e32 v82, v15, v17
	v_fma_f32 v52, v73, s16, -v51
	v_mul_f32_e32 v15, 0x3f2c7751, v82
	v_add_f32_e32 v84, v77, v52
	v_add_f32_e32 v77, v16, v18
	v_mov_b32_e32 v17, v15
	v_fmac_f32_e32 v17, 0x3f3d2fb0, v77
	v_fmac_f32_e32 v51, 0xbe8c1d8e, v73
	v_add_f32_e32 v13, v17, v13
	v_mul_f32_e32 v17, 0xbf4c4adb, v82
	v_add_f32_e32 v85, v54, v51
	v_mov_b32_e32 v51, v17
	v_add_f32_e32 v53, v53, v81
	v_fmac_f32_e32 v51, 0xbf1a4643, v77
	v_mul_f32_e32 v81, 0x3f65296c, v82
	v_add_f32_e32 v52, v51, v49
	v_mov_b32_e32 v49, v81
	v_fmac_f32_e32 v49, 0x3ee437d1, v77
	v_add_f32_e32 v51, v49, v50
	v_mul_f32_e32 v50, 0xbf763a35, v82
	v_fma_f32 v49, v77, s16, -v50
	v_add_f32_e32 v49, v49, v53
	v_fmac_f32_e32 v50, 0xbe8c1d8e, v77
	v_mul_f32_e32 v53, 0x3f7ee86f, v82
	v_add_f32_e32 v54, v50, v83
	v_fma_f32 v50, v77, s7, -v53
	v_fmac_f32_e32 v53, 0x3dbcf732, v77
	v_add_f32_e32 v50, v50, v84
	v_add_f32_e32 v53, v53, v85
	s_waitcnt lgkmcnt(0)
	s_barrier
	s_and_saveexec_b64 s[4:5], s[2:3]
	s_cbranch_execz .LBB0_19
; %bb.18:
	v_add_f32_e32 v30, v4, v30
	v_add_f32_e32 v30, v30, v32
	;; [unrolled: 1-line block ×11, first 2 shown]
	v_mul_f32_e32 v20, 0xbf65296c, v59
	v_mul_f32_e32 v83, 0x3dbcf732, v3
	;; [unrolled: 1-line block ×4, first 2 shown]
	v_add_f32_e32 v10, v24, v10
	v_mul_f32_e32 v12, 0xbeb8f4ab, v59
	v_mul_f32_e32 v16, 0xbf2c7751, v59
	v_fma_f32 v22, v3, s18, -v20
	v_fmac_f32_e32 v20, 0x3ee437d1, v3
	v_add_f32_e32 v10, v26, v10
	v_fma_f32 v14, v3, s11, -v12
	v_fmac_f32_e32 v12, 0x3f6eb680, v3
	v_fma_f32 v18, v3, s19, -v16
	v_fmac_f32_e32 v16, 0x3f3d2fb0, v3
	v_add_f32_e32 v3, v4, v20
	v_sub_f32_e32 v20, v83, v29
	v_sub_f32_e32 v24, v84, v39
	;; [unrolled: 1-line block ×3, first 2 shown]
	v_add_f32_e32 v14, v4, v14
	v_add_f32_e32 v12, v4, v12
	;; [unrolled: 1-line block ×8, first 2 shown]
	v_mul_f32_e32 v26, 0xbf2c7751, v64
	v_add_f32_e32 v10, v28, v10
	v_fma_f32 v28, v61, s19, -v26
	v_fmac_f32_e32 v26, 0x3f3d2fb0, v61
	v_add_f32_e32 v12, v12, v26
	v_mul_f32_e32 v26, 0xbf7ee86f, v64
	v_add_f32_e32 v14, v14, v28
	v_fma_f32 v28, v61, s7, -v26
	v_fmac_f32_e32 v26, 0x3dbcf732, v61
	v_add_f32_e32 v16, v16, v26
	v_mul_f32_e32 v26, 0xbf4c4adb, v64
	v_mul_f32_e32 v86, 0xbf7ba420, v61
	v_add_f32_e32 v18, v18, v28
	v_fma_f32 v28, v61, s17, -v26
	v_fmac_f32_e32 v26, 0xbf1a4643, v61
	v_mul_f32_e32 v87, 0xbf59a7d5, v61
	v_add_f32_e32 v3, v3, v26
	v_sub_f32_e32 v26, v86, v31
	v_mul_f32_e32 v88, 0xbe8c1d8e, v61
	v_add_f32_e32 v20, v20, v26
	v_sub_f32_e32 v26, v87, v37
	v_add_f32_e32 v24, v24, v26
	v_sub_f32_e32 v26, v88, v62
	v_add_f32_e32 v4, v4, v26
	v_mul_f32_e32 v26, 0xbf65296c, v66
	v_add_f32_e32 v22, v22, v28
	v_fma_f32 v28, v63, s18, -v26
	v_fmac_f32_e32 v26, 0x3ee437d1, v63
	v_add_f32_e32 v12, v12, v26
	v_mul_f32_e32 v26, 0xbf4c4adb, v66
	v_add_f32_e32 v14, v14, v28
	v_fma_f32 v28, v63, s17, -v26
	v_fmac_f32_e32 v26, 0xbf1a4643, v63
	v_add_f32_e32 v16, v16, v26
	v_mul_f32_e32 v26, 0x3e3c28d5, v66
	v_mul_f32_e32 v89, 0xbe8c1d8e, v63
	v_add_f32_e32 v18, v18, v28
	v_fma_f32 v28, v63, s10, -v26
	v_fmac_f32_e32 v26, 0xbf7ba420, v63
	v_mul_f32_e32 v90, 0x3f3d2fb0, v63
	v_add_f32_e32 v3, v3, v26
	v_sub_f32_e32 v26, v89, v27
	v_mul_f32_e32 v91, 0x3f6eb680, v63
	v_add_f32_e32 v20, v20, v26
	v_sub_f32_e32 v26, v90, v33
	v_add_f32_e32 v24, v24, v26
	v_sub_f32_e32 v26, v91, v67
	v_add_f32_e32 v4, v4, v26
	v_mul_f32_e32 v26, 0xbf7ee86f, v71
	v_mul_f32_e32 v92, 0x3f6eb680, v65
	v_fma_f32 v27, v65, s7, -v26
	v_fmac_f32_e32 v26, 0x3dbcf732, v65
	v_mul_f32_e32 v93, 0x3ee437d1, v65
	v_mul_f32_e32 v95, 0x3ee437d1, v68
	v_add_f32_e32 v12, v12, v26
	v_mul_f32_e32 v26, 0xbe3c28d5, v71
	v_sub_f32_e32 v25, v92, v25
	v_mul_f32_e32 v94, 0xbf59a7d5, v65
	v_mul_f32_e32 v96, 0xbf7ba420, v68
	;; [unrolled: 1-line block ×3, first 2 shown]
	v_add_f32_e32 v14, v14, v27
	v_fma_f32 v27, v65, s10, -v26
	v_fmac_f32_e32 v26, 0xbf7ba420, v65
	v_add_f32_e32 v20, v20, v25
	v_sub_f32_e32 v25, v93, v35
	v_sub_f32_e32 v9, v95, v9
	v_mul_f32_e32 v97, 0x3dbcf732, v68
	v_mul_f32_e32 v99, 0x3dbcf732, v70
	v_add_f32_e32 v16, v16, v26
	v_mul_f32_e32 v26, 0x3f763a35, v71
	v_add_f32_e32 v24, v24, v25
	v_sub_f32_e32 v25, v94, v69
	v_add_f32_e32 v9, v20, v9
	v_sub_f32_e32 v20, v96, v23
	v_sub_f32_e32 v11, v98, v11
	v_mul_f32_e32 v100, 0x3f3d2fb0, v70
	v_add_f32_e32 v18, v18, v27
	v_fma_f32 v27, v65, s16, -v26
	v_fmac_f32_e32 v26, 0xbe8c1d8e, v65
	v_add_f32_e32 v4, v4, v25
	v_mul_f32_e32 v25, 0xbf763a35, v74
	v_add_f32_e32 v20, v24, v20
	v_sub_f32_e32 v23, v97, v72
	v_add_f32_e32 v9, v11, v9
	v_sub_f32_e32 v11, v99, v21
	v_add_f32_e32 v3, v3, v26
	v_fma_f32 v26, v68, s16, -v25
	v_fmac_f32_e32 v25, 0xbe8c1d8e, v68
	v_add_f32_e32 v4, v4, v23
	v_mul_f32_e32 v23, 0xbf4c4adb, v78
	v_add_f32_e32 v11, v11, v20
	v_sub_f32_e32 v20, v100, v75
	v_add_f32_e32 v12, v12, v25
	v_mul_f32_e32 v25, 0x3f06c442, v74
	v_fma_f32 v24, v70, s17, -v23
	v_fmac_f32_e32 v23, 0xbf1a4643, v70
	v_add_f32_e32 v4, v20, v4
	v_mul_f32_e32 v20, 0xbf06c442, v80
	v_mul_f32_e32 v101, 0xbf1a4643, v73
	v_add_f32_e32 v14, v14, v26
	v_fma_f32 v26, v68, s6, -v25
	v_fmac_f32_e32 v25, 0xbf59a7d5, v68
	v_add_f32_e32 v12, v23, v12
	v_mul_f32_e32 v23, 0x3f763a35, v78
	v_fma_f32 v21, v73, s6, -v20
	v_fmac_f32_e32 v20, 0xbf59a7d5, v73
	v_mul_f32_e32 v102, 0x3f6eb680, v73
	v_add_f32_e32 v16, v16, v25
	v_mul_f32_e32 v25, 0x3f2c7751, v74
	v_add_f32_e32 v14, v24, v14
	v_fma_f32 v24, v70, s16, -v23
	v_fmac_f32_e32 v23, 0xbe8c1d8e, v70
	v_add_f32_e32 v12, v12, v20
	v_mul_f32_e32 v20, 0x3f65296c, v80
	v_sub_f32_e32 v19, v101, v19
	v_mul_f32_e32 v103, 0xbf7ba420, v73
	v_add_f32_e32 v18, v18, v26
	v_fma_f32 v26, v68, s19, -v25
	v_fmac_f32_e32 v25, 0x3f3d2fb0, v68
	v_add_f32_e32 v16, v23, v16
	v_mul_f32_e32 v23, 0xbeb8f4ab, v78
	v_add_f32_e32 v14, v14, v21
	v_fma_f32 v21, v73, s18, -v20
	v_fmac_f32_e32 v20, 0x3ee437d1, v73
	v_add_f32_e32 v9, v9, v19
	v_sub_f32_e32 v19, v102, v76
	v_add_f32_e32 v3, v3, v25
	v_add_f32_e32 v18, v24, v18
	v_fma_f32 v24, v70, s11, -v23
	v_fmac_f32_e32 v23, 0x3f6eb680, v70
	v_add_f32_e32 v16, v16, v20
	v_mul_f32_e32 v20, 0xbf7ee86f, v80
	v_add_f32_e32 v11, v11, v19
	v_sub_f32_e32 v19, v103, v79
	v_add_f32_e32 v3, v23, v3
	v_add_f32_e32 v18, v18, v21
	v_fma_f32 v21, v73, s7, -v20
	v_fmac_f32_e32 v20, 0x3dbcf732, v73
	v_add_f32_e32 v4, v4, v19
	v_mul_f32_e32 v19, 0xbe3c28d5, v82
	v_mul_f32_e32 v104, 0x3f3d2fb0, v77
	v_add_f32_e32 v22, v22, v28
	v_add_f32_e32 v3, v3, v20
	v_fma_f32 v20, v77, s10, -v19
	v_fmac_f32_e32 v19, 0xbf7ba420, v77
	v_mul_f32_e32 v105, 0xbf1a4643, v77
	v_add_f32_e32 v22, v22, v27
	v_add_f32_e32 v12, v19, v12
	v_mul_f32_e32 v19, 0x3eb8f4ab, v82
	v_sub_f32_e32 v15, v104, v15
	v_mul_f32_e32 v106, 0x3ee437d1, v77
	v_add_f32_e32 v22, v22, v26
	v_add_f32_e32 v14, v20, v14
	v_fma_f32 v20, v77, s11, -v19
	v_fmac_f32_e32 v19, 0x3f6eb680, v77
	v_add_f32_e32 v9, v15, v9
	v_sub_f32_e32 v15, v105, v17
	v_add_f32_e32 v10, v38, v10
	v_add_f32_e32 v22, v24, v22
	;; [unrolled: 1-line block ×3, first 2 shown]
	v_mul_f32_e32 v19, 0xbf06c442, v82
	v_add_f32_e32 v11, v15, v11
	v_sub_f32_e32 v15, v106, v81
	v_add_f32_e32 v10, v40, v10
	v_add_f32_e32 v21, v22, v21
	;; [unrolled: 1-line block ×3, first 2 shown]
	v_fma_f32 v20, v77, s6, -v19
	v_fmac_f32_e32 v19, 0xbf59a7d5, v77
	v_add_f32_e32 v4, v15, v4
	v_lshl_add_u32 v15, v0, 6, v56
	v_add_f32_e32 v20, v20, v21
	v_add_f32_e32 v3, v19, v3
	ds_write2_b32 v15, v10, v14 offset1:1
	ds_write2_b32 v15, v18, v20 offset0:2 offset1:3
	ds_write2_b32 v15, v9, v11 offset0:4 offset1:5
	ds_write2_b32 v15, v4, v49 offset0:6 offset1:7
	ds_write2_b32 v15, v50, v53 offset0:8 offset1:9
	ds_write2_b32 v15, v54, v51 offset0:10 offset1:11
	ds_write2_b32 v15, v52, v13 offset0:12 offset1:13
	ds_write2_b32 v15, v3, v16 offset0:14 offset1:15
	ds_write_b32 v15, v12 offset:64
.LBB0_19:
	s_or_b64 exec, exec, s[4:5]
	v_add_u32_e32 v9, 0x400, v56
	s_waitcnt lgkmcnt(0)
	s_barrier
	ds_read2_b32 v[11:12], v9 offset0:50 offset1:203
	v_add_u32_e32 v9, 0x800, v56
	ds_read2_b32 v[3:4], v56 offset1:153
	ds_read2_b32 v[9:10], v9 offset0:100 offset1:253
	ds_read_b32 v22, v56 offset:3672
	s_and_saveexec_b64 s[2:3], s[0:1]
	s_cbranch_execz .LBB0_21
; %bb.20:
	v_add_u32_e32 v13, 0x100, v56
	ds_read2_b32 v[49:50], v13 offset0:55 offset1:208
	v_add_u32_e32 v13, 0x600, v56
	ds_read2_b32 v[53:54], v13 offset0:41 offset1:194
	v_add_u32_e32 v13, 0xa00, v56
	ds_read2_b32 v[51:52], v13 offset0:91 offset1:244
	ds_read_b32 v13, v56 offset:4148
.LBB0_21:
	s_or_b64 exec, exec, s[2:3]
	s_movk_i32 s2, 0xf1
	v_mul_lo_u16_sdwa v14, v0, s2 dst_sel:DWORD dst_unused:UNUSED_PAD src0_sel:BYTE_0 src1_sel:DWORD
	v_lshrrev_b16_e32 v40, 12, v14
	v_mul_lo_u16_e32 v14, 17, v40
	v_sub_u16_e32 v75, v0, v14
	v_mov_b32_e32 v16, 6
	v_mul_u32_u24_sdwa v14, v75, v16 dst_sel:DWORD dst_unused:UNUSED_PAD src0_sel:BYTE_0 src1_sel:DWORD
	v_add_u16_e32 v17, 0x77, v0
	v_lshlrev_b32_e32 v15, 3, v14
	v_mul_lo_u16_sdwa v14, v17, s2 dst_sel:DWORD dst_unused:UNUSED_PAD src0_sel:BYTE_0 src1_sel:DWORD
	v_lshrrev_b16_e32 v14, 12, v14
	v_mul_lo_u16_e32 v18, 17, v14
	global_load_dwordx4 v[32:35], v15, s[8:9]
	global_load_dwordx4 v[36:39], v15, s[8:9] offset:16
	global_load_dwordx4 v[59:62], v15, s[8:9] offset:32
	v_sub_u16_e32 v15, v17, v18
	v_mul_u32_u24_sdwa v16, v15, v16 dst_sel:DWORD dst_unused:UNUSED_PAD src0_sel:BYTE_0 src1_sel:DWORD
	v_lshlrev_b32_e32 v16, 3, v16
	global_load_dwordx4 v[63:66], v16, s[8:9]
	global_load_dwordx4 v[67:70], v16, s[8:9] offset:16
	global_load_dwordx4 v[71:74], v16, s[8:9] offset:32
	s_mov_b32 s4, 0xbf5ff5aa
	s_mov_b32 s5, 0x3f3bfb3b
	;; [unrolled: 1-line block ×4, first 2 shown]
	s_waitcnt vmcnt(0) lgkmcnt(0)
	s_barrier
	v_mul_f32_e32 v26, v4, v33
	v_mul_f32_e32 v27, v11, v35
	;; [unrolled: 1-line block ×8, first 2 shown]
	v_fmac_f32_e32 v26, v44, v32
	v_fmac_f32_e32 v27, v47, v34
	;; [unrolled: 1-line block ×4, first 2 shown]
	v_mul_f32_e32 v23, v44, v33
	v_mul_f32_e32 v24, v47, v35
	;; [unrolled: 1-line block ×10, first 2 shown]
	v_fmac_f32_e32 v28, v48, v36
	v_fmac_f32_e32 v29, v45, v38
	;; [unrolled: 1-line block ×4, first 2 shown]
	v_add_f32_e32 v6, v26, v31
	v_add_f32_e32 v8, v27, v30
	v_fma_f32 v4, v4, v32, -v23
	v_fma_f32 v11, v11, v34, -v24
	;; [unrolled: 1-line block ×6, first 2 shown]
	v_add_f32_e32 v35, v28, v29
	v_add_f32_e32 v37, v8, v6
	v_mul_f32_e32 v18, v54, v68
	v_mul_f32_e32 v19, v51, v70
	v_sub_f32_e32 v34, v11, v10
	v_sub_f32_e32 v36, v9, v32
	v_sub_f32_e32 v38, v8, v6
	v_sub_f32_e32 v6, v6, v35
	v_sub_f32_e32 v8, v35, v8
	v_add_f32_e32 v35, v35, v37
	v_mul_f32_e32 v62, v42, v68
	v_mul_f32_e32 v64, v7, v70
	v_fma_f32 v12, v50, v63, -v39
	v_fmac_f32_e32 v17, v41, v65
	v_fmac_f32_e32 v18, v42, v67
	;; [unrolled: 1-line block ×3, first 2 shown]
	v_sub_f32_e32 v7, v4, v33
	v_add_f32_e32 v39, v36, v34
	v_sub_f32_e32 v41, v36, v34
	v_add_f32_e32 v42, v43, v35
	v_sub_f32_e32 v36, v7, v36
	v_sub_f32_e32 v34, v34, v7
	v_add_f32_e32 v7, v39, v7
	v_mul_f32_e32 v6, 0x3f4a47b2, v6
	v_mul_f32_e32 v37, 0x3d64c772, v8
	v_mul_f32_e32 v39, 0x3f08b237, v41
	v_mov_b32_e32 v43, v42
	v_mul_f32_e32 v41, 0xbf5ff5aa, v34
	v_fma_f32 v37, v38, s5, -v37
	v_fmac_f32_e32 v43, 0xbf955555, v35
	v_fma_f32 v35, v38, s6, -v6
	v_fmac_f32_e32 v6, 0x3d64c772, v8
	;; [unrolled: 2-line block ×3, first 2 shown]
	v_fma_f32 v34, v36, s7, -v41
	v_add_f32_e32 v6, v6, v43
	v_add_f32_e32 v36, v37, v43
	v_fmac_f32_e32 v39, 0xbee1c552, v7
	v_fmac_f32_e32 v8, 0xbee1c552, v7
	v_add_f32_e32 v35, v35, v43
	v_fmac_f32_e32 v34, 0xbee1c552, v7
	v_add_f32_e32 v7, v39, v6
	v_sub_f32_e32 v38, v36, v8
	v_add_f32_e32 v8, v8, v36
	v_sub_f32_e32 v36, v6, v39
	v_mov_b32_e32 v6, 2
	v_mul_f32_e32 v21, v13, v74
	v_mul_f32_e32 v68, v57, v74
	v_add_f32_e32 v37, v34, v35
	v_sub_f32_e32 v35, v35, v34
	v_mul_u32_u24_e32 v34, 0x1dc, v40
	v_lshlrev_b32_sdwa v39, v6, v75 dst_sel:DWORD dst_unused:UNUSED_PAD src0_sel:DWORD src1_sel:BYTE_0
	v_fma_f32 v22, v53, v65, -v60
	v_fma_f32 v23, v54, v67, -v62
	;; [unrolled: 1-line block ×4, first 2 shown]
	v_fmac_f32_e32 v21, v57, v73
	v_fma_f32 v13, v13, v73, -v68
	v_add3_u32 v34, 0, v34, v39
	ds_write2_b32 v34, v42, v7 offset1:17
	ds_write2_b32 v34, v37, v38 offset0:34 offset1:51
	ds_write2_b32 v34, v8, v35 offset0:68 offset1:85
	ds_write_b32 v34, v36 offset:408
	s_and_saveexec_b64 s[2:3], s[0:1]
	s_cbranch_execz .LBB0_23
; %bb.22:
	v_add_f32_e32 v7, v16, v21
	v_add_f32_e32 v8, v18, v19
	v_sub_f32_e32 v35, v7, v8
	v_mul_f32_e32 v35, 0x3f4a47b2, v35
	v_add_f32_e32 v36, v17, v20
	v_sub_f32_e32 v37, v8, v36
	v_mov_b32_e32 v39, v35
	v_mul_f32_e32 v38, 0x3d64c772, v37
	v_fmac_f32_e32 v39, 0x3d64c772, v37
	v_add_f32_e32 v37, v36, v7
	v_add_f32_e32 v8, v8, v37
	;; [unrolled: 1-line block ×3, first 2 shown]
	v_mov_b32_e32 v37, v5
	v_fmac_f32_e32 v37, 0xbf955555, v8
	v_sub_f32_e32 v40, v24, v23
	v_sub_f32_e32 v42, v22, v25
	v_add_f32_e32 v8, v39, v37
	v_sub_f32_e32 v39, v12, v13
	v_sub_f32_e32 v43, v40, v42
	;; [unrolled: 1-line block ×3, first 2 shown]
	v_mul_f32_e32 v43, 0x3f08b237, v43
	v_add_f32_e32 v40, v40, v42
	v_sub_f32_e32 v7, v36, v7
	v_sub_f32_e32 v36, v42, v39
	v_mov_b32_e32 v44, v43
	v_add_f32_e32 v40, v40, v39
	v_fma_f32 v35, v7, s6, -v35
	v_mul_f32_e32 v39, 0xbf5ff5aa, v36
	v_fma_f32 v36, v36, s4, -v43
	v_fma_f32 v7, v7, s5, -v38
	v_fmac_f32_e32 v44, 0xbeae86e6, v41
	v_fmac_f32_e32 v36, 0xbee1c552, v40
	v_add_f32_e32 v7, v7, v37
	v_fmac_f32_e32 v44, 0xbee1c552, v40
	v_add_f32_e32 v35, v35, v37
	v_fma_f32 v39, v41, s7, -v39
	v_add_f32_e32 v37, v36, v7
	v_sub_f32_e32 v7, v7, v36
	v_mul_u32_u24_e32 v36, 0x1dc, v14
	v_lshlrev_b32_sdwa v6, v6, v15 dst_sel:DWORD dst_unused:UNUSED_PAD src0_sel:DWORD src1_sel:BYTE_0
	v_sub_f32_e32 v45, v8, v44
	v_fmac_f32_e32 v39, 0xbee1c552, v40
	v_add_f32_e32 v8, v44, v8
	v_add3_u32 v6, 0, v36, v6
	v_sub_f32_e32 v41, v35, v39
	v_add_f32_e32 v35, v39, v35
	ds_write2_b32 v6, v5, v8 offset1:17
	ds_write2_b32 v6, v35, v7 offset0:34 offset1:51
	ds_write2_b32 v6, v37, v41 offset0:68 offset1:85
	ds_write_b32 v6, v45 offset:408
.LBB0_23:
	s_or_b64 exec, exec, s[2:3]
	v_add_f32_e32 v4, v4, v33
	v_add_f32_e32 v6, v11, v10
	v_sub_f32_e32 v7, v27, v30
	v_add_f32_e32 v8, v32, v9
	v_sub_f32_e32 v9, v29, v28
	;; [unrolled: 2-line block ×3, first 2 shown]
	v_sub_f32_e32 v11, v6, v4
	v_sub_f32_e32 v4, v4, v8
	;; [unrolled: 1-line block ×3, first 2 shown]
	v_add_f32_e32 v26, v9, v7
	v_add_f32_e32 v8, v8, v10
	v_sub_f32_e32 v27, v9, v7
	v_sub_f32_e32 v9, v5, v9
	;; [unrolled: 1-line block ×3, first 2 shown]
	v_add_f32_e32 v5, v26, v5
	v_add_f32_e32 v26, v3, v8
	v_mul_f32_e32 v3, 0x3f4a47b2, v4
	v_mul_f32_e32 v10, 0x3f08b237, v27
	;; [unrolled: 1-line block ×3, first 2 shown]
	v_mov_b32_e32 v28, v26
	v_mul_f32_e32 v4, 0x3d64c772, v6
	v_fmac_f32_e32 v28, 0xbf955555, v8
	v_fma_f32 v8, v11, s6, -v3
	v_fmac_f32_e32 v3, 0x3d64c772, v6
	v_fma_f32 v6, v7, s4, -v10
	v_fma_f32 v7, v9, s7, -v27
	;; [unrolled: 1-line block ×3, first 2 shown]
	v_fmac_f32_e32 v10, 0xbeae86e6, v9
	v_add_f32_e32 v8, v8, v28
	v_fmac_f32_e32 v7, 0xbee1c552, v5
	v_add_f32_e32 v3, v3, v28
	v_add_f32_e32 v4, v4, v28
	v_fmac_f32_e32 v10, 0xbee1c552, v5
	v_fmac_f32_e32 v6, 0xbee1c552, v5
	v_sub_f32_e32 v28, v8, v7
	v_add_f32_e32 v31, v7, v8
	v_add_u32_e32 v5, 0x200, v56
	v_add_u32_e32 v7, 0x600, v56
	;; [unrolled: 1-line block ×3, first 2 shown]
	v_sub_f32_e32 v27, v3, v10
	v_add_f32_e32 v29, v6, v4
	v_sub_f32_e32 v30, v4, v6
	v_add_f32_e32 v32, v10, v3
	s_waitcnt lgkmcnt(0)
	s_barrier
	ds_read2_b32 v[3:4], v56 offset1:119
	ds_read2_b32 v[5:6], v5 offset0:110 offset1:229
	ds_read2_b32 v[7:8], v7 offset0:92 offset1:211
	;; [unrolled: 1-line block ×3, first 2 shown]
	ds_read_b32 v11, v56 offset:3808
	s_waitcnt lgkmcnt(0)
	s_barrier
	ds_write2_b32 v34, v26, v27 offset1:17
	ds_write2_b32 v34, v28, v29 offset0:34 offset1:51
	ds_write2_b32 v34, v30, v31 offset0:68 offset1:85
	ds_write_b32 v34, v32 offset:408
	s_and_saveexec_b64 s[2:3], s[0:1]
	s_cbranch_execz .LBB0_25
; %bb.24:
	v_add_f32_e32 v12, v12, v13
	v_sub_f32_e32 v13, v16, v21
	v_add_f32_e32 v16, v22, v25
	v_sub_f32_e32 v17, v17, v20
	;; [unrolled: 2-line block ×3, first 2 shown]
	v_add_f32_e32 v19, v16, v12
	v_add_f32_e32 v19, v20, v19
	v_sub_f32_e32 v21, v16, v12
	v_sub_f32_e32 v12, v12, v20
	v_sub_f32_e32 v16, v20, v16
	v_add_f32_e32 v22, v18, v17
	v_add_f32_e32 v20, v49, v19
	v_sub_f32_e32 v23, v18, v17
	v_sub_f32_e32 v18, v13, v18
	v_sub_f32_e32 v17, v17, v13
	v_add_f32_e32 v13, v22, v13
	v_mul_f32_e32 v22, 0x3d64c772, v16
	v_mov_b32_e32 v25, v20
	s_mov_b32 s1, 0x3f3bfb3b
	v_mul_f32_e32 v12, 0x3f4a47b2, v12
	v_mul_f32_e32 v23, 0x3f08b237, v23
	s_mov_b32 s0, 0xbf5ff5aa
	v_fmac_f32_e32 v25, 0xbf955555, v19
	v_fma_f32 v19, v21, s1, -v22
	s_mov_b32 s1, 0xbf3bfb3b
	v_mul_f32_e32 v24, 0xbf5ff5aa, v17
	v_fma_f32 v21, v21, s1, -v12
	v_fmac_f32_e32 v12, 0x3d64c772, v16
	v_fma_f32 v16, v17, s0, -v23
	s_mov_b32 s0, 0x3eae86e6
	v_fmac_f32_e32 v23, 0xbeae86e6, v18
	v_fma_f32 v17, v18, s0, -v24
	v_add_f32_e32 v18, v19, v25
	v_fmac_f32_e32 v16, 0xbee1c552, v13
	v_add_f32_e32 v22, v16, v18
	v_sub_f32_e32 v16, v18, v16
	v_mov_b32_e32 v18, 2
	v_add_f32_e32 v12, v12, v25
	v_fmac_f32_e32 v23, 0xbee1c552, v13
	v_mul_u32_u24_e32 v14, 0x1dc, v14
	v_lshlrev_b32_sdwa v15, v18, v15 dst_sel:DWORD dst_unused:UNUSED_PAD src0_sel:DWORD src1_sel:BYTE_0
	v_add_f32_e32 v19, v21, v25
	v_fmac_f32_e32 v17, 0xbee1c552, v13
	v_sub_f32_e32 v13, v12, v23
	v_add3_u32 v14, 0, v14, v15
	v_sub_f32_e32 v21, v19, v17
	v_add_f32_e32 v17, v17, v19
	v_add_f32_e32 v12, v23, v12
	ds_write2_b32 v14, v20, v13 offset1:17
	ds_write2_b32 v14, v21, v22 offset0:34 offset1:51
	ds_write2_b32 v14, v16, v17 offset0:68 offset1:85
	ds_write_b32 v14, v12 offset:408
.LBB0_25:
	s_or_b64 exec, exec, s[2:3]
	s_waitcnt lgkmcnt(0)
	s_barrier
	s_and_saveexec_b64 s[0:1], vcc
	s_cbranch_execz .LBB0_27
; %bb.26:
	v_lshlrev_b32_e32 v12, 3, v0
	v_mov_b32_e32 v13, 0
	v_lshlrev_b64 v[12:13], 3, v[12:13]
	v_mov_b32_e32 v0, s9
	v_add_co_u32_e32 v28, vcc, s8, v12
	v_addc_co_u32_e32 v29, vcc, v0, v13, vcc
	global_load_dwordx4 v[12:15], v[28:29], off offset:816
	global_load_dwordx4 v[16:19], v[28:29], off offset:864
	;; [unrolled: 1-line block ×4, first 2 shown]
	v_add_u32_e32 v30, 0x200, v56
	v_add_u32_e32 v32, 0xa00, v56
	;; [unrolled: 1-line block ×3, first 2 shown]
	ds_read2_b32 v[28:29], v56 offset1:119
	ds_read_b32 v0, v56 offset:3808
	ds_read2_b32 v[30:31], v30 offset0:110 offset1:229
	ds_read2_b32 v[32:33], v32 offset0:74 offset1:193
	;; [unrolled: 1-line block ×3, first 2 shown]
	v_mov_b32_e32 v36, v3
	s_mov_b32 s0, 0xbf248dbb
	s_waitcnt lgkmcnt(4)
	v_mov_b32_e32 v37, v28
	s_waitcnt vmcnt(3)
	v_mul_f32_e32 v38, v4, v12
	v_mul_f32_e32 v42, v5, v14
	s_waitcnt vmcnt(2)
	v_mul_f32_e32 v43, v10, v16
	s_waitcnt vmcnt(1)
	;; [unrolled: 2-line block ×3, first 2 shown]
	v_mul_f32_e32 v45, v8, v24
	v_mul_f32_e32 v10, v10, v17
	;; [unrolled: 1-line block ×10, first 2 shown]
	v_fmac_f32_e32 v38, v29, v13
	s_waitcnt lgkmcnt(2)
	v_fmac_f32_e32 v42, v30, v15
	s_waitcnt lgkmcnt(1)
	;; [unrolled: 2-line block ×3, first 2 shown]
	v_fmac_f32_e32 v44, v34, v23
	v_fmac_f32_e32 v45, v35, v25
	v_fma_f32 v10, v33, v16, -v10
	v_fma_f32 v5, v30, v14, -v5
	;; [unrolled: 1-line block ×4, first 2 shown]
	v_mul_f32_e32 v41, v9, v26
	v_mul_f32_e32 v9, v9, v27
	v_fmac_f32_e32 v39, v0, v19
	v_fmac_f32_e32 v40, v31, v21
	v_fma_f32 v6, v31, v20, -v6
	v_fma_f32 v0, v0, v18, -v11
	;; [unrolled: 1-line block ×3, first 2 shown]
	v_sub_f32_e32 v21, v44, v45
	v_add_f32_e32 v22, v5, v10
	v_sub_f32_e32 v29, v13, v8
	v_add_f32_e32 v31, v42, v43
	v_fmac_f32_e32 v41, v32, v27
	v_fma_f32 v7, v32, v26, -v9
	v_sub_f32_e32 v20, v42, v43
	v_add_f32_e32 v23, v13, v8
	v_add_f32_e32 v25, v4, v0
	v_sub_f32_e32 v0, v4, v0
	v_sub_f32_e32 v27, v5, v10
	v_add_f32_e32 v30, v44, v45
	v_mul_f32_e32 v4, 0x3f7c1c5c, v21
	v_fmac_f32_e32 v37, 0x3f441b7d, v22
	v_mul_f32_e32 v5, 0x3f7c1c5c, v29
	v_fmac_f32_e32 v36, 0x3f441b7d, v31
	v_sub_f32_e32 v19, v40, v41
	v_add_f32_e32 v24, v6, v7
	v_sub_f32_e32 v26, v6, v7
	v_add_f32_e32 v32, v40, v41
	v_fma_f32 v6, v20, s0, -v4
	v_fmac_f32_e32 v37, 0x3e31d0d4, v23
	v_fma_f32 v9, v27, s0, -v5
	v_fmac_f32_e32 v36, 0x3e31d0d4, v30
	v_sub_f32_e32 v18, v38, v39
	v_add_f32_e32 v33, v38, v39
	v_fmac_f32_e32 v6, 0x3f5db3d7, v19
	v_fmac_f32_e32 v37, -0.5, v24
	v_fmac_f32_e32 v9, 0x3f5db3d7, v26
	v_fmac_f32_e32 v36, -0.5, v32
	v_add_f32_e32 v10, v25, v22
	v_fmac_f32_e32 v6, 0x3eaf1d44, v18
	v_fmac_f32_e32 v37, 0xbf708fb2, v25
	;; [unrolled: 1-line block ×4, first 2 shown]
	v_add_f32_e32 v11, v24, v10
	v_add_f32_e32 v5, v6, v37
	v_sub_f32_e32 v4, v36, v9
	v_fma_f32 v7, -2.0, v6, v5
	v_fma_f32 v6, 2.0, v9, v4
	v_add_f32_e32 v9, v11, v13
	v_add_f32_e32 v11, v18, v21
	v_sub_f32_e32 v13, v11, v20
	v_add_f32_e32 v11, v24, v28
	v_add_f32_e32 v10, v10, v23
	v_fmac_f32_e32 v11, -0.5, v10
	v_add_f32_e32 v8, v9, v8
	v_add_f32_e32 v12, v33, v31
	v_mul_f32_e32 v14, 0x3f5db3d7, v13
	v_fmac_f32_e32 v11, 0x3f5db3d7, v13
	v_add_f32_e32 v10, v0, v29
	v_add_f32_e32 v9, v28, v8
	;; [unrolled: 1-line block ×3, first 2 shown]
	v_fma_f32 v13, -2.0, v14, v11
	v_sub_f32_e32 v14, v10, v27
	v_add_f32_e32 v10, v3, v32
	v_add_f32_e32 v12, v12, v30
	v_fmac_f32_e32 v10, -0.5, v12
	v_mul_f32_e32 v15, 0x3f5db3d7, v14
	v_fmac_f32_e32 v10, 0xbf5db3d7, v14
	v_mul_f32_e32 v14, 0xbf248dbb, v21
	v_fma_f32 v12, 2.0, v15, v10
	v_fmac_f32_e32 v14, 0x3f7c1c5c, v18
	v_mov_b32_e32 v15, v28
	v_fmac_f32_e32 v14, 0xbf5db3d7, v19
	v_fmac_f32_e32 v15, 0x3f441b7d, v23
	;; [unrolled: 1-line block ×5, first 2 shown]
	v_mul_f32_e32 v20, 0x3f7c1c5c, v20
	v_fmac_f32_e32 v28, 0x3e31d0d4, v22
	v_fmac_f32_e32 v15, -0.5, v24
	v_fmac_f32_e32 v20, 0x3f248dbb, v18
	v_fmac_f32_e32 v28, -0.5, v24
	v_fmac_f32_e32 v15, 0xbf708fb2, v22
	v_fmac_f32_e32 v20, 0x3f5db3d7, v19
	;; [unrolled: 1-line block ×3, first 2 shown]
	v_mad_u64_u32 v[22:23], s[0:1], s12, v55, 0
	v_fmac_f32_e32 v20, 0x3eaf1d44, v21
	v_add_f32_e32 v19, v20, v28
	v_mul_f32_e32 v16, 0xbf248dbb, v29
	v_fma_f32 v21, -2.0, v20, v19
	v_mul_f32_e32 v20, 0x3f7c1c5c, v27
	v_add_f32_e32 v8, v8, v44
	v_fmac_f32_e32 v16, 0x3f7c1c5c, v0
	v_fmac_f32_e32 v20, 0x3f248dbb, v0
	v_mov_b32_e32 v0, v23
	v_add_f32_e32 v8, v8, v45
	v_add_f32_e32 v15, v14, v15
	v_mad_u64_u32 v[23:24], s[0:1], s13, v55, v[0:1]
	v_add_f32_e32 v8, v3, v8
	v_fma_f32 v17, -2.0, v14, v15
	v_mov_b32_e32 v14, v3
	v_fmac_f32_e32 v3, 0x3f441b7d, v33
	v_lshlrev_b64 v[0:1], 3, v[1:2]
	v_fmac_f32_e32 v3, 0x3e31d0d4, v31
	v_fmac_f32_e32 v20, 0x3f5db3d7, v26
	v_fmac_f32_e32 v3, -0.5, v32
	v_mov_b32_e32 v2, s15
	v_add_co_u32_e32 v25, vcc, s14, v0
	v_fmac_f32_e32 v16, 0xbf5db3d7, v26
	v_fmac_f32_e32 v20, 0x3eaf1d44, v29
	;; [unrolled: 1-line block ×3, first 2 shown]
	v_addc_co_u32_e32 v26, vcc, v2, v1, vcc
	v_lshlrev_b64 v[0:1], 3, v[22:23]
	v_add_u32_e32 v22, 0x77, v55
	v_sub_f32_e32 v18, v3, v20
	v_mad_u64_u32 v[2:3], s[0:1], s12, v22, 0
	v_fmac_f32_e32 v16, 0x3eaf1d44, v27
	v_add_u32_e32 v27, 0xee, v55
	v_mad_u64_u32 v[22:23], s[0:1], s13, v22, v[3:4]
	v_mad_u64_u32 v[23:24], s[0:1], s12, v27, 0
	v_add_co_u32_e32 v0, vcc, v25, v0
	v_addc_co_u32_e32 v1, vcc, v26, v1, vcc
	v_mov_b32_e32 v3, v22
	global_store_dwordx2 v[0:1], v[8:9], off
	v_lshlrev_b64 v[0:1], 3, v[2:3]
	v_mov_b32_e32 v2, v24
	v_mad_u64_u32 v[2:3], s[0:1], s13, v27, v[2:3]
	v_add_u32_e32 v8, 0x165, v55
	v_add_co_u32_e32 v0, vcc, v25, v0
	v_mov_b32_e32 v24, v2
	v_mad_u64_u32 v[2:3], s[0:1], s12, v8, 0
	v_fmac_f32_e32 v14, 0x3f441b7d, v30
	v_addc_co_u32_e32 v1, vcc, v26, v1, vcc
	v_mad_u64_u32 v[8:9], s[0:1], s13, v8, v[3:4]
	v_add_u32_e32 v9, 0x1dc, v55
	v_fmac_f32_e32 v14, 0x3e31d0d4, v33
	v_fma_f32 v20, 2.0, v20, v18
	global_store_dwordx2 v[0:1], v[18:19], off
	v_lshlrev_b64 v[0:1], 3, v[23:24]
	v_mad_u64_u32 v[18:19], s[0:1], s12, v9, 0
	v_fmac_f32_e32 v14, -0.5, v32
	v_fmac_f32_e32 v14, 0xbf708fb2, v31
	v_add_co_u32_e32 v0, vcc, v25, v0
	v_sub_f32_e32 v14, v14, v16
	v_addc_co_u32_e32 v1, vcc, v26, v1, vcc
	v_mov_b32_e32 v3, v8
	global_store_dwordx2 v[0:1], v[14:15], off
	v_lshlrev_b64 v[0:1], 3, v[2:3]
	v_mov_b32_e32 v2, v19
	v_mad_u64_u32 v[2:3], s[0:1], s13, v9, v[2:3]
	v_add_u32_e32 v8, 0x253, v55
	v_add_co_u32_e32 v0, vcc, v25, v0
	v_mov_b32_e32 v19, v2
	v_mad_u64_u32 v[2:3], s[0:1], s12, v8, 0
	v_addc_co_u32_e32 v1, vcc, v26, v1, vcc
	global_store_dwordx2 v[0:1], v[10:11], off
	v_mad_u64_u32 v[8:9], s[0:1], s13, v8, v[3:4]
	v_add_u32_e32 v11, 0x2ca, v55
	v_lshlrev_b64 v[0:1], 3, v[18:19]
	v_mad_u64_u32 v[9:10], s[0:1], s12, v11, 0
	v_add_co_u32_e32 v0, vcc, v25, v0
	v_addc_co_u32_e32 v1, vcc, v26, v1, vcc
	v_mov_b32_e32 v3, v8
	global_store_dwordx2 v[0:1], v[4:5], off
	v_lshlrev_b64 v[0:1], 3, v[2:3]
	v_mov_b32_e32 v2, v10
	v_mad_u64_u32 v[2:3], s[0:1], s13, v11, v[2:3]
	v_add_u32_e32 v4, 0x341, v55
	v_add_co_u32_e32 v0, vcc, v25, v0
	v_mov_b32_e32 v10, v2
	v_mad_u64_u32 v[2:3], s[0:1], s12, v4, 0
	v_addc_co_u32_e32 v1, vcc, v26, v1, vcc
	global_store_dwordx2 v[0:1], v[6:7], off
	v_mad_u64_u32 v[3:4], s[0:1], s13, v4, v[3:4]
	v_add_u32_e32 v6, 0x3b8, v55
	v_lshlrev_b64 v[0:1], 3, v[9:10]
	v_mad_u64_u32 v[4:5], s[0:1], s12, v6, 0
	v_add_co_u32_e32 v0, vcc, v25, v0
	v_addc_co_u32_e32 v1, vcc, v26, v1, vcc
	global_store_dwordx2 v[0:1], v[12:13], off
	v_lshlrev_b64 v[0:1], 3, v[2:3]
	v_mov_b32_e32 v2, v5
	v_mad_u64_u32 v[2:3], s[0:1], s13, v6, v[2:3]
	v_add_co_u32_e32 v0, vcc, v25, v0
	v_fma_f32 v16, 2.0, v16, v14
	v_addc_co_u32_e32 v1, vcc, v26, v1, vcc
	v_mov_b32_e32 v5, v2
	global_store_dwordx2 v[0:1], v[16:17], off
	v_lshlrev_b64 v[0:1], 3, v[4:5]
	v_add_co_u32_e32 v0, vcc, v25, v0
	v_addc_co_u32_e32 v1, vcc, v26, v1, vcc
	global_store_dwordx2 v[0:1], v[20:21], off
.LBB0_27:
	s_endpgm
	.section	.rodata,"a",@progbits
	.p2align	6, 0x0
	.amdhsa_kernel fft_rtc_back_len1071_factors_17_7_9_wgs_119_tpt_119_halfLds_sp_ip_CI_sbrr_dirReg
		.amdhsa_group_segment_fixed_size 0
		.amdhsa_private_segment_fixed_size 0
		.amdhsa_kernarg_size 88
		.amdhsa_user_sgpr_count 6
		.amdhsa_user_sgpr_private_segment_buffer 1
		.amdhsa_user_sgpr_dispatch_ptr 0
		.amdhsa_user_sgpr_queue_ptr 0
		.amdhsa_user_sgpr_kernarg_segment_ptr 1
		.amdhsa_user_sgpr_dispatch_id 0
		.amdhsa_user_sgpr_flat_scratch_init 0
		.amdhsa_user_sgpr_private_segment_size 0
		.amdhsa_uses_dynamic_stack 0
		.amdhsa_system_sgpr_private_segment_wavefront_offset 0
		.amdhsa_system_sgpr_workgroup_id_x 1
		.amdhsa_system_sgpr_workgroup_id_y 0
		.amdhsa_system_sgpr_workgroup_id_z 0
		.amdhsa_system_sgpr_workgroup_info 0
		.amdhsa_system_vgpr_workitem_id 0
		.amdhsa_next_free_vgpr 109
		.amdhsa_next_free_sgpr 24
		.amdhsa_reserve_vcc 1
		.amdhsa_reserve_flat_scratch 0
		.amdhsa_float_round_mode_32 0
		.amdhsa_float_round_mode_16_64 0
		.amdhsa_float_denorm_mode_32 3
		.amdhsa_float_denorm_mode_16_64 3
		.amdhsa_dx10_clamp 1
		.amdhsa_ieee_mode 1
		.amdhsa_fp16_overflow 0
		.amdhsa_exception_fp_ieee_invalid_op 0
		.amdhsa_exception_fp_denorm_src 0
		.amdhsa_exception_fp_ieee_div_zero 0
		.amdhsa_exception_fp_ieee_overflow 0
		.amdhsa_exception_fp_ieee_underflow 0
		.amdhsa_exception_fp_ieee_inexact 0
		.amdhsa_exception_int_div_zero 0
	.end_amdhsa_kernel
	.text
.Lfunc_end0:
	.size	fft_rtc_back_len1071_factors_17_7_9_wgs_119_tpt_119_halfLds_sp_ip_CI_sbrr_dirReg, .Lfunc_end0-fft_rtc_back_len1071_factors_17_7_9_wgs_119_tpt_119_halfLds_sp_ip_CI_sbrr_dirReg
                                        ; -- End function
	.section	.AMDGPU.csdata,"",@progbits
; Kernel info:
; codeLenInByte = 10748
; NumSgprs: 28
; NumVgprs: 109
; ScratchSize: 0
; MemoryBound: 0
; FloatMode: 240
; IeeeMode: 1
; LDSByteSize: 0 bytes/workgroup (compile time only)
; SGPRBlocks: 3
; VGPRBlocks: 27
; NumSGPRsForWavesPerEU: 28
; NumVGPRsForWavesPerEU: 109
; Occupancy: 2
; WaveLimiterHint : 1
; COMPUTE_PGM_RSRC2:SCRATCH_EN: 0
; COMPUTE_PGM_RSRC2:USER_SGPR: 6
; COMPUTE_PGM_RSRC2:TRAP_HANDLER: 0
; COMPUTE_PGM_RSRC2:TGID_X_EN: 1
; COMPUTE_PGM_RSRC2:TGID_Y_EN: 0
; COMPUTE_PGM_RSRC2:TGID_Z_EN: 0
; COMPUTE_PGM_RSRC2:TIDIG_COMP_CNT: 0
	.type	__hip_cuid_e49090acd3fb9726,@object ; @__hip_cuid_e49090acd3fb9726
	.section	.bss,"aw",@nobits
	.globl	__hip_cuid_e49090acd3fb9726
__hip_cuid_e49090acd3fb9726:
	.byte	0                               ; 0x0
	.size	__hip_cuid_e49090acd3fb9726, 1

	.ident	"AMD clang version 19.0.0git (https://github.com/RadeonOpenCompute/llvm-project roc-6.4.0 25133 c7fe45cf4b819c5991fe208aaa96edf142730f1d)"
	.section	".note.GNU-stack","",@progbits
	.addrsig
	.addrsig_sym __hip_cuid_e49090acd3fb9726
	.amdgpu_metadata
---
amdhsa.kernels:
  - .args:
      - .actual_access:  read_only
        .address_space:  global
        .offset:         0
        .size:           8
        .value_kind:     global_buffer
      - .offset:         8
        .size:           8
        .value_kind:     by_value
      - .actual_access:  read_only
        .address_space:  global
        .offset:         16
        .size:           8
        .value_kind:     global_buffer
      - .actual_access:  read_only
        .address_space:  global
        .offset:         24
        .size:           8
        .value_kind:     global_buffer
      - .offset:         32
        .size:           8
        .value_kind:     by_value
      - .actual_access:  read_only
        .address_space:  global
        .offset:         40
        .size:           8
        .value_kind:     global_buffer
      - .actual_access:  read_only
        .address_space:  global
        .offset:         48
        .size:           8
        .value_kind:     global_buffer
      - .offset:         56
        .size:           4
        .value_kind:     by_value
      - .actual_access:  read_only
        .address_space:  global
        .offset:         64
        .size:           8
        .value_kind:     global_buffer
      - .actual_access:  read_only
        .address_space:  global
        .offset:         72
        .size:           8
        .value_kind:     global_buffer
      - .address_space:  global
        .offset:         80
        .size:           8
        .value_kind:     global_buffer
    .group_segment_fixed_size: 0
    .kernarg_segment_align: 8
    .kernarg_segment_size: 88
    .language:       OpenCL C
    .language_version:
      - 2
      - 0
    .max_flat_workgroup_size: 119
    .name:           fft_rtc_back_len1071_factors_17_7_9_wgs_119_tpt_119_halfLds_sp_ip_CI_sbrr_dirReg
    .private_segment_fixed_size: 0
    .sgpr_count:     28
    .sgpr_spill_count: 0
    .symbol:         fft_rtc_back_len1071_factors_17_7_9_wgs_119_tpt_119_halfLds_sp_ip_CI_sbrr_dirReg.kd
    .uniform_work_group_size: 1
    .uses_dynamic_stack: false
    .vgpr_count:     109
    .vgpr_spill_count: 0
    .wavefront_size: 64
amdhsa.target:   amdgcn-amd-amdhsa--gfx906
amdhsa.version:
  - 1
  - 2
...

	.end_amdgpu_metadata
